;; amdgpu-corpus repo=ROCm/rocFFT kind=compiled arch=gfx906 opt=O3
	.text
	.amdgcn_target "amdgcn-amd-amdhsa--gfx906"
	.amdhsa_code_object_version 6
	.protected	fft_rtc_fwd_len1836_factors_17_3_3_2_6_wgs_153_tpt_153_halfLds_dp_op_CI_CI_unitstride_sbrr_R2C_dirReg ; -- Begin function fft_rtc_fwd_len1836_factors_17_3_3_2_6_wgs_153_tpt_153_halfLds_dp_op_CI_CI_unitstride_sbrr_R2C_dirReg
	.globl	fft_rtc_fwd_len1836_factors_17_3_3_2_6_wgs_153_tpt_153_halfLds_dp_op_CI_CI_unitstride_sbrr_R2C_dirReg
	.p2align	8
	.type	fft_rtc_fwd_len1836_factors_17_3_3_2_6_wgs_153_tpt_153_halfLds_dp_op_CI_CI_unitstride_sbrr_R2C_dirReg,@function
fft_rtc_fwd_len1836_factors_17_3_3_2_6_wgs_153_tpt_153_halfLds_dp_op_CI_CI_unitstride_sbrr_R2C_dirReg: ; @fft_rtc_fwd_len1836_factors_17_3_3_2_6_wgs_153_tpt_153_halfLds_dp_op_CI_CI_unitstride_sbrr_R2C_dirReg
; %bb.0:
	s_load_dwordx4 s[8:11], s[4:5], 0x58
	s_load_dwordx4 s[12:15], s[4:5], 0x0
	;; [unrolled: 1-line block ×3, first 2 shown]
	v_mul_u32_u24_e32 v1, 0x1ad, v0
	v_add_u32_sdwa v5, s6, v1 dst_sel:DWORD dst_unused:UNUSED_PAD src0_sel:DWORD src1_sel:WORD_1
	v_mov_b32_e32 v3, 0
	s_waitcnt lgkmcnt(0)
	v_cmp_lt_u64_e64 s[0:1], s[14:15], 2
	v_mov_b32_e32 v1, 0
	v_mov_b32_e32 v6, v3
	s_and_b64 vcc, exec, s[0:1]
	v_mov_b32_e32 v2, 0
	s_cbranch_vccnz .LBB0_8
; %bb.1:
	s_load_dwordx2 s[0:1], s[4:5], 0x10
	s_add_u32 s2, s18, 8
	s_addc_u32 s3, s19, 0
	s_add_u32 s6, s16, 8
	v_mov_b32_e32 v1, 0
	s_addc_u32 s7, s17, 0
	v_mov_b32_e32 v2, 0
	s_waitcnt lgkmcnt(0)
	s_add_u32 s20, s0, 8
	v_mov_b32_e32 v69, v2
	s_addc_u32 s21, s1, 0
	s_mov_b64 s[22:23], 1
	v_mov_b32_e32 v68, v1
.LBB0_2:                                ; =>This Inner Loop Header: Depth=1
	s_load_dwordx2 s[24:25], s[20:21], 0x0
                                        ; implicit-def: $vgpr72_vgpr73
	s_waitcnt lgkmcnt(0)
	v_or_b32_e32 v4, s25, v6
	v_cmp_ne_u64_e32 vcc, 0, v[3:4]
	s_and_saveexec_b64 s[0:1], vcc
	s_xor_b64 s[26:27], exec, s[0:1]
	s_cbranch_execz .LBB0_4
; %bb.3:                                ;   in Loop: Header=BB0_2 Depth=1
	v_cvt_f32_u32_e32 v4, s24
	v_cvt_f32_u32_e32 v7, s25
	s_sub_u32 s0, 0, s24
	s_subb_u32 s1, 0, s25
	v_mac_f32_e32 v4, 0x4f800000, v7
	v_rcp_f32_e32 v4, v4
	v_mul_f32_e32 v4, 0x5f7ffffc, v4
	v_mul_f32_e32 v7, 0x2f800000, v4
	v_trunc_f32_e32 v7, v7
	v_mac_f32_e32 v4, 0xcf800000, v7
	v_cvt_u32_f32_e32 v7, v7
	v_cvt_u32_f32_e32 v4, v4
	v_mul_lo_u32 v8, s0, v7
	v_mul_hi_u32 v9, s0, v4
	v_mul_lo_u32 v11, s1, v4
	v_mul_lo_u32 v10, s0, v4
	v_add_u32_e32 v8, v9, v8
	v_add_u32_e32 v8, v8, v11
	v_mul_hi_u32 v9, v4, v10
	v_mul_lo_u32 v11, v4, v8
	v_mul_hi_u32 v13, v4, v8
	v_mul_hi_u32 v12, v7, v10
	v_mul_lo_u32 v10, v7, v10
	v_mul_hi_u32 v14, v7, v8
	v_add_co_u32_e32 v9, vcc, v9, v11
	v_addc_co_u32_e32 v11, vcc, 0, v13, vcc
	v_mul_lo_u32 v8, v7, v8
	v_add_co_u32_e32 v9, vcc, v9, v10
	v_addc_co_u32_e32 v9, vcc, v11, v12, vcc
	v_addc_co_u32_e32 v10, vcc, 0, v14, vcc
	v_add_co_u32_e32 v8, vcc, v9, v8
	v_addc_co_u32_e32 v9, vcc, 0, v10, vcc
	v_add_co_u32_e32 v4, vcc, v4, v8
	v_addc_co_u32_e32 v7, vcc, v7, v9, vcc
	v_mul_lo_u32 v8, s0, v7
	v_mul_hi_u32 v9, s0, v4
	v_mul_lo_u32 v10, s1, v4
	v_mul_lo_u32 v11, s0, v4
	v_add_u32_e32 v8, v9, v8
	v_add_u32_e32 v8, v8, v10
	v_mul_lo_u32 v12, v4, v8
	v_mul_hi_u32 v13, v4, v11
	v_mul_hi_u32 v14, v4, v8
	v_mul_hi_u32 v10, v7, v11
	v_mul_lo_u32 v11, v7, v11
	v_mul_hi_u32 v9, v7, v8
	v_add_co_u32_e32 v12, vcc, v13, v12
	v_addc_co_u32_e32 v13, vcc, 0, v14, vcc
	v_mul_lo_u32 v8, v7, v8
	v_add_co_u32_e32 v11, vcc, v12, v11
	v_addc_co_u32_e32 v10, vcc, v13, v10, vcc
	v_addc_co_u32_e32 v9, vcc, 0, v9, vcc
	v_add_co_u32_e32 v8, vcc, v10, v8
	v_addc_co_u32_e32 v9, vcc, 0, v9, vcc
	v_add_co_u32_e32 v4, vcc, v4, v8
	v_addc_co_u32_e32 v9, vcc, v7, v9, vcc
	v_mad_u64_u32 v[7:8], s[0:1], v5, v9, 0
	v_mul_hi_u32 v10, v5, v4
	v_add_co_u32_e32 v11, vcc, v10, v7
	v_addc_co_u32_e32 v12, vcc, 0, v8, vcc
	v_mad_u64_u32 v[7:8], s[0:1], v6, v4, 0
	v_mad_u64_u32 v[9:10], s[0:1], v6, v9, 0
	v_add_co_u32_e32 v4, vcc, v11, v7
	v_addc_co_u32_e32 v4, vcc, v12, v8, vcc
	v_addc_co_u32_e32 v7, vcc, 0, v10, vcc
	v_add_co_u32_e32 v4, vcc, v4, v9
	v_addc_co_u32_e32 v9, vcc, 0, v7, vcc
	v_mul_lo_u32 v10, s25, v4
	v_mul_lo_u32 v11, s24, v9
	v_mad_u64_u32 v[7:8], s[0:1], s24, v4, 0
	v_add3_u32 v8, v8, v11, v10
	v_sub_u32_e32 v10, v6, v8
	v_mov_b32_e32 v11, s25
	v_sub_co_u32_e32 v7, vcc, v5, v7
	v_subb_co_u32_e64 v10, s[0:1], v10, v11, vcc
	v_subrev_co_u32_e64 v11, s[0:1], s24, v7
	v_subbrev_co_u32_e64 v10, s[0:1], 0, v10, s[0:1]
	v_cmp_le_u32_e64 s[0:1], s25, v10
	v_cndmask_b32_e64 v12, 0, -1, s[0:1]
	v_cmp_le_u32_e64 s[0:1], s24, v11
	v_cndmask_b32_e64 v11, 0, -1, s[0:1]
	v_cmp_eq_u32_e64 s[0:1], s25, v10
	v_cndmask_b32_e64 v10, v12, v11, s[0:1]
	v_add_co_u32_e64 v11, s[0:1], 2, v4
	v_addc_co_u32_e64 v12, s[0:1], 0, v9, s[0:1]
	v_add_co_u32_e64 v13, s[0:1], 1, v4
	v_addc_co_u32_e64 v14, s[0:1], 0, v9, s[0:1]
	v_subb_co_u32_e32 v8, vcc, v6, v8, vcc
	v_cmp_ne_u32_e64 s[0:1], 0, v10
	v_cmp_le_u32_e32 vcc, s25, v8
	v_cndmask_b32_e64 v10, v14, v12, s[0:1]
	v_cndmask_b32_e64 v12, 0, -1, vcc
	v_cmp_le_u32_e32 vcc, s24, v7
	v_cndmask_b32_e64 v7, 0, -1, vcc
	v_cmp_eq_u32_e32 vcc, s25, v8
	v_cndmask_b32_e32 v7, v12, v7, vcc
	v_cmp_ne_u32_e32 vcc, 0, v7
	v_cndmask_b32_e64 v7, v13, v11, s[0:1]
	v_cndmask_b32_e32 v73, v9, v10, vcc
	v_cndmask_b32_e32 v72, v4, v7, vcc
.LBB0_4:                                ;   in Loop: Header=BB0_2 Depth=1
	s_andn2_saveexec_b64 s[0:1], s[26:27]
	s_cbranch_execz .LBB0_6
; %bb.5:                                ;   in Loop: Header=BB0_2 Depth=1
	v_cvt_f32_u32_e32 v4, s24
	s_sub_i32 s26, 0, s24
	v_mov_b32_e32 v73, v3
	v_rcp_iflag_f32_e32 v4, v4
	v_mul_f32_e32 v4, 0x4f7ffffe, v4
	v_cvt_u32_f32_e32 v4, v4
	v_mul_lo_u32 v7, s26, v4
	v_mul_hi_u32 v7, v4, v7
	v_add_u32_e32 v4, v4, v7
	v_mul_hi_u32 v4, v5, v4
	v_mul_lo_u32 v7, v4, s24
	v_add_u32_e32 v8, 1, v4
	v_sub_u32_e32 v7, v5, v7
	v_subrev_u32_e32 v9, s24, v7
	v_cmp_le_u32_e32 vcc, s24, v7
	v_cndmask_b32_e32 v7, v7, v9, vcc
	v_cndmask_b32_e32 v4, v4, v8, vcc
	v_add_u32_e32 v8, 1, v4
	v_cmp_le_u32_e32 vcc, s24, v7
	v_cndmask_b32_e32 v72, v4, v8, vcc
.LBB0_6:                                ;   in Loop: Header=BB0_2 Depth=1
	s_or_b64 exec, exec, s[0:1]
	v_mul_lo_u32 v4, v73, s24
	v_mul_lo_u32 v9, v72, s25
	v_mad_u64_u32 v[7:8], s[0:1], v72, s24, 0
	s_load_dwordx2 s[0:1], s[6:7], 0x0
	s_load_dwordx2 s[24:25], s[2:3], 0x0
	v_add3_u32 v4, v8, v9, v4
	v_sub_co_u32_e32 v5, vcc, v5, v7
	v_subb_co_u32_e32 v4, vcc, v6, v4, vcc
	s_waitcnt lgkmcnt(0)
	v_mul_lo_u32 v6, s0, v4
	v_mul_lo_u32 v7, s1, v5
	v_mad_u64_u32 v[1:2], s[0:1], s0, v5, v[1:2]
	v_mul_lo_u32 v4, s24, v4
	v_mul_lo_u32 v8, s25, v5
	v_mad_u64_u32 v[68:69], s[0:1], s24, v5, v[68:69]
	s_add_u32 s22, s22, 1
	s_addc_u32 s23, s23, 0
	s_add_u32 s2, s2, 8
	v_add3_u32 v69, v8, v69, v4
	s_addc_u32 s3, s3, 0
	v_mov_b32_e32 v4, s14
	s_add_u32 s6, s6, 8
	v_mov_b32_e32 v5, s15
	s_addc_u32 s7, s7, 0
	v_cmp_ge_u64_e32 vcc, s[22:23], v[4:5]
	s_add_u32 s20, s20, 8
	v_add3_u32 v2, v7, v2, v6
	s_addc_u32 s21, s21, 0
	s_cbranch_vccnz .LBB0_9
; %bb.7:                                ;   in Loop: Header=BB0_2 Depth=1
	v_mov_b32_e32 v5, v72
	v_mov_b32_e32 v6, v73
	s_branch .LBB0_2
.LBB0_8:
	v_mov_b32_e32 v69, v2
	v_mov_b32_e32 v73, v6
	;; [unrolled: 1-line block ×4, first 2 shown]
.LBB0_9:
	s_load_dwordx2 s[4:5], s[4:5], 0x28
	s_lshl_b64 s[6:7], s[14:15], 3
	s_add_u32 s2, s18, s6
	s_addc_u32 s3, s19, s7
                                        ; implicit-def: $vgpr70
	s_waitcnt lgkmcnt(0)
	v_cmp_gt_u64_e64 s[0:1], s[4:5], v[72:73]
	v_cmp_le_u64_e32 vcc, s[4:5], v[72:73]
	s_and_saveexec_b64 s[4:5], vcc
	s_xor_b64 s[4:5], exec, s[4:5]
; %bb.10:
	s_mov_b32 s14, 0x1ac5702
	v_mul_hi_u32 v1, v0, s14
	v_mul_u32_u24_e32 v1, 0x99, v1
	v_sub_u32_e32 v70, v0, v1
                                        ; implicit-def: $vgpr0
                                        ; implicit-def: $vgpr1_vgpr2
; %bb.11:
	s_andn2_saveexec_b64 s[4:5], s[4:5]
	s_cbranch_execz .LBB0_13
; %bb.12:
	s_add_u32 s6, s16, s6
	s_addc_u32 s7, s17, s7
	s_load_dwordx2 s[6:7], s[6:7], 0x0
	s_mov_b32 s14, 0x1ac5702
	v_mul_hi_u32 v5, v0, s14
	s_waitcnt lgkmcnt(0)
	v_mul_lo_u32 v6, s7, v72
	v_mul_lo_u32 v7, s6, v73
	v_mad_u64_u32 v[3:4], s[6:7], s6, v72, 0
	v_mul_u32_u24_e32 v5, 0x99, v5
	v_sub_u32_e32 v70, v0, v5
	v_add3_u32 v4, v4, v7, v6
	v_lshlrev_b64 v[3:4], 4, v[3:4]
	v_mov_b32_e32 v0, s9
	v_add_co_u32_e32 v3, vcc, s8, v3
	v_addc_co_u32_e32 v4, vcc, v0, v4, vcc
	v_lshlrev_b64 v[0:1], 4, v[1:2]
	v_lshlrev_b32_e32 v52, 4, v70
	v_add_co_u32_e32 v0, vcc, v3, v0
	v_addc_co_u32_e32 v1, vcc, v4, v1, vcc
	v_add_co_u32_e32 v39, vcc, v0, v52
	v_addc_co_u32_e32 v40, vcc, 0, v1, vcc
	s_movk_i32 s6, 0x1000
	v_add_co_u32_e32 v16, vcc, s6, v39
	v_addc_co_u32_e32 v17, vcc, 0, v40, vcc
	s_movk_i32 s6, 0x2000
	;; [unrolled: 3-line block ×3, first 2 shown]
	v_add_co_u32_e32 v32, vcc, s6, v39
	s_movk_i32 s7, 0x4000
	v_addc_co_u32_e32 v33, vcc, 0, v40, vcc
	v_add_co_u32_e32 v41, vcc, s7, v39
	v_addc_co_u32_e32 v42, vcc, 0, v40, vcc
	v_add_co_u32_e32 v48, vcc, 0x5000, v39
	;; [unrolled: 2-line block ×3, first 2 shown]
	global_load_dwordx4 v[0:3], v[39:40], off
	global_load_dwordx4 v[4:7], v[39:40], off offset:2448
	global_load_dwordx4 v[8:11], v[16:17], off offset:800
	;; [unrolled: 1-line block ×3, first 2 shown]
	s_nop 0
	global_load_dwordx4 v[16:19], v[24:25], off offset:1600
	global_load_dwordx4 v[20:23], v[24:25], off offset:4048
	s_nop 0
	global_load_dwordx4 v[24:27], v[32:33], off offset:2400
	global_load_dwordx4 v[28:31], v[41:42], off offset:752
	;; [unrolled: 3-line block ×3, first 2 shown]
	v_addc_co_u32_e32 v51, vcc, 0, v40, vcc
	global_load_dwordx4 v[40:43], v[48:49], off offset:4000
	global_load_dwordx4 v[44:47], v[50:51], off offset:2352
	v_add_u32_e32 v48, 0, v52
	s_waitcnt vmcnt(11)
	ds_write_b128 v48, v[0:3]
	s_waitcnt vmcnt(10)
	ds_write_b128 v48, v[4:7] offset:2448
	s_waitcnt vmcnt(9)
	ds_write_b128 v48, v[8:11] offset:4896
	;; [unrolled: 2-line block ×11, first 2 shown]
.LBB0_13:
	s_or_b64 exec, exec, s[4:5]
	v_lshl_add_u32 v114, v70, 4, 0
	s_waitcnt lgkmcnt(0)
	s_barrier
	ds_read_b128 v[0:3], v114
	ds_read_b128 v[40:43], v114 offset:1728
	ds_read_b128 v[48:51], v114 offset:3456
	;; [unrolled: 1-line block ×16, first 2 shown]
	s_movk_i32 s4, 0x6c
	v_cmp_gt_u32_e32 vcc, s4, v70
	s_waitcnt lgkmcnt(0)
	s_barrier
	s_and_saveexec_b64 s[4:5], vcc
	s_cbranch_execz .LBB0_15
; %bb.14:
	v_add_f64 v[78:79], v[2:3], v[42:43]
	v_add_f64 v[80:81], v[0:1], v[40:41]
	;; [unrolled: 1-line block ×3, first 2 shown]
	v_add_f64 v[96:97], v[46:47], -v[30:31]
	v_add_f64 v[100:101], v[54:55], v[26:27]
	v_add_f64 v[102:103], v[54:55], -v[26:27]
	s_mov_b32 s6, 0x7faef3
	s_mov_b32 s7, 0xbfef7484
	v_add_f64 v[86:87], v[78:79], v[50:51]
	v_add_f64 v[90:91], v[80:81], v[48:49]
	v_add_f64 v[80:81], v[44:45], -v[28:29]
	v_add_f64 v[78:79], v[44:45], v[28:29]
	v_add_f64 v[82:83], v[38:39], v[34:35]
	v_add_f64 v[76:77], v[36:37], -v[32:33]
	v_add_f64 v[74:75], v[36:37], v[32:33]
	v_add_f64 v[84:85], v[38:39], -v[34:35]
	v_add_f64 v[94:95], v[86:87], v[58:59]
	v_add_f64 v[108:109], v[90:91], v[56:57]
	v_add_f64 v[88:89], v[52:53], -v[24:25]
	v_add_f64 v[86:87], v[52:53], v[24:25]
	v_add_f64 v[106:107], v[62:63], v[22:23]
	v_add_f64 v[104:105], v[62:63], -v[22:23]
	s_mov_b32 s14, 0xacd6c6b4
	s_mov_b32 s8, 0x370991
	v_add_f64 v[115:116], v[94:95], v[66:67]
	v_add_f64 v[117:118], v[108:109], v[64:65]
	s_mov_b32 s15, 0x3fc7851a
	s_mov_b32 s9, 0x3fedd6d0
	v_add_f64 v[92:93], v[60:61], -v[20:21]
	v_add_f64 v[90:91], v[60:61], v[20:21]
	v_add_f64 v[112:113], v[58:59], v[14:15]
	s_mov_b32 s16, 0x5d8e7cdc
	v_add_f64 v[115:116], v[115:116], v[62:63]
	v_add_f64 v[117:118], v[117:118], v[60:61]
	;; [unrolled: 1-line block ×3, first 2 shown]
	v_add_f64 v[60:61], v[58:59], -v[14:15]
	v_add_f64 v[58:59], v[48:49], -v[8:9]
	s_mov_b32 s18, 0x910ea3b9
	s_mov_b32 s17, 0xbfd71e95
	;; [unrolled: 1-line block ×3, first 2 shown]
	v_add_f64 v[115:116], v[115:116], v[54:55]
	v_add_f64 v[117:118], v[117:118], v[52:53]
	;; [unrolled: 1-line block ×3, first 2 shown]
	v_add_f64 v[52:53], v[40:41], -v[4:5]
	v_add_f64 v[110:111], v[66:67], v[18:19]
	v_add_f64 v[108:109], v[66:67], -v[18:19]
	v_add_f64 v[66:67], v[56:57], -v[12:13]
	;; [unrolled: 1-line block ×3, first 2 shown]
	v_add_f64 v[46:47], v[115:116], v[46:47]
	v_add_f64 v[44:45], v[117:118], v[44:45]
	v_mul_f64 v[115:116], v[54:55], s[6:7]
	s_mov_b32 s20, 0x4363dd80
	s_mov_b32 s28, 0x75d4884
	;; [unrolled: 1-line block ×5, first 2 shown]
	v_add_f64 v[38:39], v[46:47], v[38:39]
	v_add_f64 v[36:37], v[44:45], v[36:37]
	v_mul_f64 v[44:45], v[62:63], s[8:9]
	v_fma_f64 v[46:47], v[52:53], s[14:15], v[115:116]
	s_mov_b32 s26, s14
	v_add_f64 v[94:95], v[64:65], -v[16:17]
	v_add_f64 v[50:51], v[50:51], -v[10:11]
	v_add_f64 v[40:41], v[40:41], v[4:5]
	v_add_f64 v[34:35], v[38:39], v[34:35]
	;; [unrolled: 1-line block ×3, first 2 shown]
	v_mul_f64 v[36:37], v[112:113], s[18:19]
	v_fma_f64 v[38:39], v[58:59], s[16:17], v[44:45]
	v_add_f64 v[46:47], v[2:3], v[46:47]
	s_mov_b32 s46, 0x2a9d6da3
	s_mov_b32 s22, 0x6ed5f1bb
	;; [unrolled: 1-line block ×3, first 2 shown]
	v_add_f64 v[30:31], v[34:35], v[30:31]
	v_add_f64 v[28:29], v[32:33], v[28:29]
	v_mul_f64 v[32:33], v[110:111], s[28:29]
	v_fma_f64 v[34:35], v[66:67], s[20:21], v[36:37]
	s_mov_b32 s23, 0xbfe348c8
	s_mov_b32 s35, 0x3fd71e95
	;; [unrolled: 1-line block ×3, first 2 shown]
	v_add_f64 v[48:49], v[48:49], v[8:9]
	v_add_f64 v[26:27], v[30:31], v[26:27]
	;; [unrolled: 1-line block ×4, first 2 shown]
	v_mul_f64 v[38:39], v[42:43], s[26:27]
	v_mul_f64 v[30:31], v[106:107], s[22:23]
	v_fma_f64 v[46:47], v[94:95], s[46:47], v[32:33]
	s_mov_b32 s24, 0x6c9a05f6
	s_mov_b32 s25, 0x3fe9895b
	v_add_f64 v[22:23], v[26:27], v[22:23]
	v_add_f64 v[20:21], v[24:25], v[20:21]
	v_add_f64 v[24:25], v[34:35], v[28:29]
	v_mul_f64 v[26:27], v[50:51], s[34:35]
	v_fma_f64 v[28:29], v[40:41], s[6:7], v[38:39]
	s_mov_b32 s41, 0xbfe0d888
	s_mov_b32 s40, s20
	v_add_f64 v[64:65], v[64:65], v[16:17]
	v_add_f64 v[56:57], v[56:57], v[12:13]
	v_fma_f64 v[34:35], v[92:93], s[24:25], v[30:31]
	v_add_f64 v[18:19], v[22:23], v[18:19]
	v_add_f64 v[16:17], v[20:21], v[16:17]
	;; [unrolled: 1-line block ×3, first 2 shown]
	v_fma_f64 v[22:23], v[48:49], s[8:9], v[26:27]
	v_add_f64 v[24:25], v[0:1], v[28:29]
	v_mul_f64 v[28:29], v[60:61], s[40:41]
	s_mov_b32 s30, 0x2b2883cd
	s_mov_b32 s31, 0x3fdc86fa
	;; [unrolled: 1-line block ×4, first 2 shown]
	v_add_f64 v[14:15], v[18:19], v[14:15]
	v_add_f64 v[12:13], v[16:17], v[12:13]
	;; [unrolled: 1-line block ×3, first 2 shown]
	v_mul_f64 v[18:19], v[100:101], s[30:31]
	v_add_f64 v[20:21], v[22:23], v[24:25]
	v_fma_f64 v[22:23], v[56:57], s[18:19], v[28:29]
	v_mul_f64 v[24:25], v[108:109], s[44:45]
	s_mov_b32 s36, 0x7c9e640b
	s_mov_b32 s38, 0xc61f0d01
	;; [unrolled: 1-line block ×6, first 2 shown]
	v_fma_f64 v[34:35], v[88:89], s[36:37], v[18:19]
	v_mul_f64 v[46:47], v[98:99], s[38:39]
	v_add_f64 v[20:21], v[22:23], v[20:21]
	v_fma_f64 v[22:23], v[64:65], s[28:29], v[24:25]
	v_mul_f64 v[117:118], v[104:105], s[50:51]
	s_mov_b32 s42, 0x923c349f
	s_mov_b32 s43, 0x3feec746
	v_add_f64 v[10:11], v[14:15], v[10:11]
	v_add_f64 v[14:15], v[34:35], v[16:17]
	v_fma_f64 v[16:17], v[80:81], s[42:43], v[46:47]
	s_mov_b32 s53, 0x3feca52d
	v_add_f64 v[20:21], v[22:23], v[20:21]
	v_fma_f64 v[22:23], v[52:53], s[26:27], v[115:116]
	v_fma_f64 v[34:35], v[90:91], s[22:23], v[117:118]
	s_mov_b32 s52, s36
	v_mul_f64 v[115:116], v[102:103], s[52:53]
	v_add_f64 v[8:9], v[12:13], v[8:9]
	v_add_f64 v[6:7], v[10:11], v[6:7]
	v_fma_f64 v[10:11], v[58:59], s[34:35], v[44:45]
	v_add_f64 v[14:15], v[16:17], v[14:15]
	v_add_f64 v[12:13], v[2:3], v[22:23]
	;; [unrolled: 1-line block ×3, first 2 shown]
	v_fma_f64 v[20:21], v[40:41], s[6:7], -v[38:39]
	v_fma_f64 v[22:23], v[86:87], s[30:31], v[115:116]
	v_fma_f64 v[26:27], v[48:49], s[8:9], -v[26:27]
	s_mov_b32 s54, 0x3259b75e
	s_mov_b32 s55, 0x3fb79ee6
	;; [unrolled: 1-line block ×3, first 2 shown]
	v_add_f64 v[10:11], v[10:11], v[12:13]
	v_fma_f64 v[12:13], v[66:67], s[40:41], v[36:37]
	v_add_f64 v[20:21], v[0:1], v[20:21]
	v_add_f64 v[16:17], v[22:23], v[16:17]
	v_mul_f64 v[22:23], v[82:83], s[54:55]
	s_mov_b32 s49, 0xbfeec746
	s_mov_b32 s48, s42
	;; [unrolled: 1-line block ×3, first 2 shown]
	v_mul_f64 v[34:35], v[96:97], s[48:49]
	v_add_f64 v[10:11], v[12:13], v[10:11]
	v_fma_f64 v[12:13], v[94:95], s[44:45], v[32:33]
	v_add_f64 v[20:21], v[26:27], v[20:21]
	v_fma_f64 v[26:27], v[56:57], s[18:19], -v[28:29]
	v_fma_f64 v[28:29], v[76:77], s[58:59], v[22:23]
	v_mul_f64 v[32:33], v[54:55], s[18:19]
	v_add_f64 v[4:5], v[8:9], v[4:5]
	v_fma_f64 v[24:25], v[64:65], s[28:29], -v[24:25]
	v_fma_f64 v[36:37], v[78:79], s[38:39], v[34:35]
	v_add_f64 v[8:9], v[12:13], v[10:11]
	v_fma_f64 v[12:13], v[92:93], s[50:51], v[30:31]
	v_add_f64 v[20:21], v[26:27], v[20:21]
	v_add_f64 v[10:11], v[28:29], v[14:15]
	v_fma_f64 v[14:15], v[52:53], s[20:21], v[32:33]
	v_mul_f64 v[26:27], v[62:63], s[30:31]
	v_mul_f64 v[28:29], v[112:113], s[54:55]
	v_add_f64 v[16:17], v[36:37], v[16:17]
	v_mul_f64 v[36:37], v[42:43], s[40:41]
	v_add_f64 v[8:9], v[12:13], v[8:9]
	v_fma_f64 v[12:13], v[88:89], s[52:53], v[18:19]
	v_add_f64 v[18:19], v[24:25], v[20:21]
	v_fma_f64 v[20:21], v[90:91], s[22:23], -v[117:118]
	v_add_f64 v[14:15], v[2:3], v[14:15]
	v_fma_f64 v[24:25], v[58:59], s[36:37], v[26:27]
	s_mov_b32 s57, 0x3fefdd0d
	s_mov_b32 s56, s58
	v_mul_f64 v[30:31], v[84:85], s[56:57]
	v_add_f64 v[8:9], v[12:13], v[8:9]
	v_mul_f64 v[38:39], v[110:111], s[22:23]
	v_add_f64 v[12:13], v[20:21], v[18:19]
	v_fma_f64 v[18:19], v[86:87], s[30:31], -v[115:116]
	v_fma_f64 v[20:21], v[80:81], s[48:49], v[46:47]
	v_add_f64 v[14:15], v[24:25], v[14:15]
	v_fma_f64 v[24:25], v[66:67], s[56:57], v[28:29]
	v_fma_f64 v[46:47], v[40:41], s[18:19], v[36:37]
	v_mul_f64 v[115:116], v[50:51], s[52:53]
	v_fma_f64 v[44:45], v[74:75], s[54:55], v[30:31]
	v_mul_f64 v[119:120], v[60:61], s[58:59]
	v_add_f64 v[12:13], v[18:19], v[12:13]
	v_fma_f64 v[18:19], v[78:79], s[38:39], -v[34:35]
	v_add_f64 v[20:21], v[20:21], v[8:9]
	v_add_f64 v[14:15], v[24:25], v[14:15]
	v_fma_f64 v[24:25], v[94:95], s[50:51], v[38:39]
	v_mul_f64 v[34:35], v[106:107], s[8:9]
	v_add_f64 v[46:47], v[0:1], v[46:47]
	v_fma_f64 v[117:118], v[48:49], s[30:31], v[115:116]
	v_add_f64 v[8:9], v[44:45], v[16:17]
	v_add_f64 v[12:13], v[18:19], v[12:13]
	v_fma_f64 v[18:19], v[76:77], s[56:57], v[22:23]
	v_fma_f64 v[22:23], v[74:75], s[54:55], -v[30:31]
	v_add_f64 v[16:17], v[24:25], v[14:15]
	v_fma_f64 v[24:25], v[92:93], s[34:35], v[34:35]
	v_fma_f64 v[44:45], v[56:57], s[54:55], v[119:120]
	v_add_f64 v[30:31], v[117:118], v[46:47]
	v_mul_f64 v[46:47], v[108:109], s[24:25]
	v_fma_f64 v[26:27], v[58:59], s[52:53], v[26:27]
	v_add_f64 v[14:15], v[18:19], v[20:21]
	v_add_f64 v[12:13], v[22:23], v[12:13]
	v_fma_f64 v[18:19], v[52:53], s[40:41], v[32:33]
	v_fma_f64 v[22:23], v[40:41], s[18:19], -v[36:37]
	v_mul_f64 v[20:21], v[100:101], s[6:7]
	v_add_f64 v[16:17], v[24:25], v[16:17]
	v_add_f64 v[24:25], v[44:45], v[30:31]
	v_fma_f64 v[30:31], v[64:65], s[22:23], v[46:47]
	v_mul_f64 v[32:33], v[104:105], s[16:17]
	v_fma_f64 v[44:45], v[48:49], s[30:31], -v[115:116]
	v_add_f64 v[18:19], v[2:3], v[18:19]
	v_add_f64 v[22:23], v[0:1], v[22:23]
	v_fma_f64 v[36:37], v[88:89], s[14:15], v[20:21]
	v_mul_f64 v[115:116], v[98:99], s[28:29]
	v_mul_f64 v[117:118], v[102:103], s[26:27]
	v_add_f64 v[24:25], v[30:31], v[24:25]
	v_fma_f64 v[30:31], v[90:91], s[8:9], v[32:33]
	v_mul_f64 v[121:122], v[82:83], s[38:39]
	v_add_f64 v[18:19], v[26:27], v[18:19]
	v_fma_f64 v[26:27], v[66:67], s[58:59], v[28:29]
	v_add_f64 v[22:23], v[44:45], v[22:23]
	v_fma_f64 v[28:29], v[56:57], s[54:55], -v[119:120]
	v_add_f64 v[16:17], v[36:37], v[16:17]
	v_fma_f64 v[36:37], v[80:81], s[46:47], v[115:116]
	v_add_f64 v[24:25], v[30:31], v[24:25]
	v_mul_f64 v[30:31], v[54:55], s[22:23]
	v_fma_f64 v[44:45], v[86:87], s[6:7], v[117:118]
	v_add_f64 v[18:19], v[26:27], v[18:19]
	v_fma_f64 v[26:27], v[94:95], s[24:25], v[38:39]
	v_add_f64 v[22:23], v[28:29], v[22:23]
	v_fma_f64 v[28:29], v[64:65], s[22:23], -v[46:47]
	v_mul_f64 v[38:39], v[96:97], s[44:45]
	v_add_f64 v[16:17], v[36:37], v[16:17]
	v_fma_f64 v[36:37], v[52:53], s[24:25], v[30:31]
	v_mul_f64 v[46:47], v[62:63], s[38:39]
	v_add_f64 v[24:25], v[44:45], v[24:25]
	v_mul_f64 v[44:45], v[42:43], s[50:51]
	v_add_f64 v[18:19], v[26:27], v[18:19]
	v_add_f64 v[22:23], v[28:29], v[22:23]
	v_fma_f64 v[28:29], v[90:91], s[8:9], -v[32:33]
	v_fma_f64 v[26:27], v[92:93], s[16:17], v[34:35]
	v_fma_f64 v[34:35], v[78:79], s[28:29], v[38:39]
	v_add_f64 v[32:33], v[2:3], v[36:37]
	v_fma_f64 v[36:37], v[58:59], s[48:49], v[46:47]
	v_mul_f64 v[119:120], v[112:113], s[8:9]
	v_mul_f64 v[123:124], v[50:51], s[42:43]
	v_fma_f64 v[20:21], v[88:89], s[26:27], v[20:21]
	v_add_f64 v[22:23], v[28:29], v[22:23]
	v_fma_f64 v[28:29], v[86:87], s[6:7], -v[117:118]
	v_fma_f64 v[117:118], v[40:41], s[22:23], v[44:45]
	v_add_f64 v[18:19], v[26:27], v[18:19]
	v_mul_f64 v[26:27], v[84:85], s[48:49]
	v_add_f64 v[32:33], v[36:37], v[32:33]
	v_fma_f64 v[36:37], v[66:67], s[34:35], v[119:120]
	v_mul_f64 v[125:126], v[110:111], s[18:19]
	v_add_f64 v[24:25], v[34:35], v[24:25]
	v_fma_f64 v[34:35], v[76:77], s[42:43], v[121:122]
	v_add_f64 v[117:118], v[0:1], v[117:118]
	v_fma_f64 v[127:128], v[48:49], s[38:39], v[123:124]
	v_mul_f64 v[129:130], v[60:61], s[16:17]
	v_add_f64 v[20:21], v[20:21], v[18:19]
	v_fma_f64 v[131:132], v[74:75], s[38:39], v[26:27]
	v_add_f64 v[22:23], v[28:29], v[22:23]
	v_add_f64 v[28:29], v[36:37], v[32:33]
	v_fma_f64 v[32:33], v[94:95], s[20:21], v[125:126]
	v_mul_f64 v[36:37], v[106:107], s[54:55]
	v_add_f64 v[18:19], v[34:35], v[16:17]
	v_add_f64 v[34:35], v[127:128], v[117:118]
	v_fma_f64 v[117:118], v[56:57], s[8:9], v[129:130]
	v_mul_f64 v[127:128], v[108:109], s[40:41]
	v_fma_f64 v[115:116], v[80:81], s[44:45], v[115:116]
	v_fma_f64 v[38:39], v[78:79], s[28:29], -v[38:39]
	v_add_f64 v[16:17], v[131:132], v[24:25]
	v_add_f64 v[24:25], v[32:33], v[28:29]
	v_fma_f64 v[28:29], v[92:93], s[58:59], v[36:37]
	v_mul_f64 v[131:132], v[104:105], s[56:57]
	v_add_f64 v[34:35], v[117:118], v[34:35]
	v_fma_f64 v[117:118], v[64:65], s[18:19], v[127:128]
	v_mul_f64 v[32:33], v[100:101], s[28:29]
	v_add_f64 v[20:21], v[115:116], v[20:21]
	v_add_f64 v[38:39], v[38:39], v[22:23]
	v_fma_f64 v[22:23], v[76:77], s[48:49], v[121:122]
	v_fma_f64 v[30:31], v[52:53], s[50:51], v[30:31]
	v_add_f64 v[24:25], v[28:29], v[24:25]
	v_fma_f64 v[44:45], v[40:41], s[22:23], -v[44:45]
	v_add_f64 v[28:29], v[117:118], v[34:35]
	v_fma_f64 v[34:35], v[90:91], s[54:55], v[131:132]
	v_mul_f64 v[115:116], v[102:103], s[46:47]
	v_fma_f64 v[117:118], v[88:89], s[44:45], v[32:33]
	v_fma_f64 v[46:47], v[58:59], s[42:43], v[46:47]
	v_add_f64 v[30:31], v[2:3], v[30:31]
	v_mul_f64 v[121:122], v[98:99], s[6:7]
	v_add_f64 v[22:23], v[22:23], v[20:21]
	v_add_f64 v[44:45], v[0:1], v[44:45]
	;; [unrolled: 1-line block ×3, first 2 shown]
	v_fma_f64 v[34:35], v[48:49], s[38:39], -v[123:124]
	v_fma_f64 v[26:27], v[74:75], s[38:39], -v[26:27]
	v_fma_f64 v[28:29], v[86:87], s[28:29], v[115:116]
	v_add_f64 v[30:31], v[46:47], v[30:31]
	v_fma_f64 v[46:47], v[66:67], s[16:17], v[119:120]
	v_add_f64 v[24:25], v[117:118], v[24:25]
	v_fma_f64 v[117:118], v[80:81], s[14:15], v[121:122]
	v_mul_f64 v[119:120], v[82:83], s[30:31]
	v_add_f64 v[34:35], v[34:35], v[44:45]
	v_fma_f64 v[44:45], v[56:57], s[8:9], -v[129:130]
	v_add_f64 v[28:29], v[28:29], v[20:21]
	v_add_f64 v[20:21], v[26:27], v[38:39]
	;; [unrolled: 1-line block ×3, first 2 shown]
	v_fma_f64 v[46:47], v[94:95], s[40:41], v[125:126]
	v_add_f64 v[24:25], v[117:118], v[24:25]
	v_fma_f64 v[117:118], v[76:77], s[36:37], v[119:120]
	v_mul_f64 v[125:126], v[54:55], s[38:39]
	v_add_f64 v[34:35], v[44:45], v[34:35]
	v_fma_f64 v[38:39], v[64:65], s[18:19], -v[127:128]
	v_fma_f64 v[36:37], v[92:93], s[56:57], v[36:37]
	v_mul_f64 v[44:45], v[62:63], s[18:19]
	v_add_f64 v[30:31], v[46:47], v[30:31]
	v_mul_f64 v[123:124], v[96:97], s[26:27]
	v_add_f64 v[26:27], v[117:118], v[24:25]
	v_fma_f64 v[24:25], v[52:53], s[42:43], v[125:126]
	v_fma_f64 v[117:118], v[90:91], s[54:55], -v[131:132]
	v_add_f64 v[34:35], v[38:39], v[34:35]
	v_mul_f64 v[38:39], v[42:43], s[48:49]
	v_fma_f64 v[32:33], v[88:89], s[46:47], v[32:33]
	v_add_f64 v[30:31], v[36:37], v[30:31]
	v_fma_f64 v[36:37], v[58:59], s[40:41], v[44:45]
	v_mul_f64 v[127:128], v[112:113], s[28:29]
	v_add_f64 v[24:25], v[2:3], v[24:25]
	v_fma_f64 v[115:116], v[86:87], s[28:29], -v[115:116]
	v_add_f64 v[34:35], v[117:118], v[34:35]
	v_fma_f64 v[129:130], v[78:79], s[6:7], v[123:124]
	v_mul_f64 v[46:47], v[84:85], s[52:53]
	v_fma_f64 v[131:132], v[40:41], s[38:39], v[38:39]
	v_mul_f64 v[133:134], v[50:51], s[20:21]
	v_add_f64 v[30:31], v[32:33], v[30:31]
	v_add_f64 v[24:25], v[36:37], v[24:25]
	v_fma_f64 v[32:33], v[66:67], s[46:47], v[127:128]
	v_mul_f64 v[36:37], v[110:111], s[30:31]
	v_add_f64 v[34:35], v[115:116], v[34:35]
	v_fma_f64 v[115:116], v[78:79], s[6:7], -v[123:124]
	v_add_f64 v[28:29], v[129:130], v[28:29]
	v_fma_f64 v[129:130], v[74:75], s[30:31], v[46:47]
	v_add_f64 v[117:118], v[0:1], v[131:132]
	v_fma_f64 v[131:132], v[48:49], s[18:19], v[133:134]
	v_mul_f64 v[135:136], v[60:61], s[44:45]
	v_fma_f64 v[121:122], v[80:81], s[26:27], v[121:122]
	v_add_f64 v[24:25], v[32:33], v[24:25]
	v_fma_f64 v[32:33], v[94:95], s[52:53], v[36:37]
	v_add_f64 v[34:35], v[115:116], v[34:35]
	v_fma_f64 v[46:47], v[74:75], s[30:31], -v[46:47]
	v_mul_f64 v[123:124], v[106:107], s[6:7]
	v_add_f64 v[117:118], v[131:132], v[117:118]
	v_fma_f64 v[131:132], v[56:57], s[28:29], v[135:136]
	v_mul_f64 v[137:138], v[108:109], s[36:37]
	v_add_f64 v[30:31], v[121:122], v[30:31]
	v_fma_f64 v[115:116], v[76:77], s[52:53], v[119:120]
	v_add_f64 v[32:33], v[32:33], v[24:25]
	v_add_f64 v[24:25], v[129:130], v[28:29]
	v_add_f64 v[28:29], v[46:47], v[34:35]
	v_fma_f64 v[34:35], v[52:53], s[48:49], v[125:126]
	v_fma_f64 v[119:120], v[92:93], s[14:15], v[123:124]
	v_add_f64 v[117:118], v[131:132], v[117:118]
	v_fma_f64 v[121:122], v[64:65], s[30:31], v[137:138]
	v_mul_f64 v[129:130], v[104:105], s[26:27]
	v_add_f64 v[30:31], v[115:116], v[30:31]
	v_mul_f64 v[115:116], v[100:101], s[54:55]
	v_fma_f64 v[38:39], v[40:41], s[38:39], -v[38:39]
	v_fma_f64 v[44:45], v[58:59], s[20:21], v[44:45]
	v_add_f64 v[34:35], v[2:3], v[34:35]
	v_add_f64 v[32:33], v[119:120], v[32:33]
	;; [unrolled: 1-line block ×3, first 2 shown]
	v_fma_f64 v[117:118], v[90:91], s[6:7], v[129:130]
	v_mul_f64 v[119:120], v[102:103], s[56:57]
	v_fma_f64 v[121:122], v[88:89], s[58:59], v[115:116]
	v_mul_f64 v[125:126], v[98:99], s[8:9]
	v_fma_f64 v[131:132], v[48:49], s[18:19], -v[133:134]
	v_add_f64 v[38:39], v[0:1], v[38:39]
	v_add_f64 v[34:35], v[44:45], v[34:35]
	v_fma_f64 v[44:45], v[66:67], s[44:45], v[127:128]
	v_add_f64 v[46:47], v[117:118], v[46:47]
	v_fma_f64 v[117:118], v[86:87], s[54:55], v[119:120]
	v_mul_f64 v[133:134], v[96:97], s[16:17]
	v_add_f64 v[32:33], v[121:122], v[32:33]
	v_fma_f64 v[121:122], v[80:81], s[34:35], v[125:126]
	v_add_f64 v[38:39], v[131:132], v[38:39]
	v_fma_f64 v[127:128], v[56:57], s[28:29], -v[135:136]
	v_add_f64 v[34:35], v[44:45], v[34:35]
	v_fma_f64 v[36:37], v[94:95], s[36:37], v[36:37]
	v_add_f64 v[46:47], v[117:118], v[46:47]
	v_fma_f64 v[117:118], v[78:79], s[8:9], v[133:134]
	v_mul_f64 v[131:132], v[82:83], s[22:23]
	v_add_f64 v[32:33], v[121:122], v[32:33]
	v_mul_f64 v[121:122], v[54:55], s[54:55]
	v_add_f64 v[38:39], v[127:128], v[38:39]
	v_fma_f64 v[44:45], v[64:65], s[30:31], -v[137:138]
	v_add_f64 v[36:37], v[36:37], v[34:35]
	v_fma_f64 v[123:124], v[92:93], s[26:27], v[123:124]
	v_add_f64 v[46:47], v[117:118], v[46:47]
	v_fma_f64 v[117:118], v[76:77], s[24:25], v[131:132]
	v_mul_f64 v[127:128], v[84:85], s[50:51]
	v_fma_f64 v[135:136], v[52:53], s[56:57], v[121:122]
	v_mul_f64 v[137:138], v[62:63], s[6:7]
	v_add_f64 v[38:39], v[44:45], v[38:39]
	v_fma_f64 v[44:45], v[90:91], s[6:7], -v[129:130]
	v_add_f64 v[36:37], v[123:124], v[36:37]
	v_fma_f64 v[115:116], v[88:89], s[56:57], v[115:116]
	v_add_f64 v[34:35], v[117:118], v[32:33]
	v_fma_f64 v[32:33], v[74:75], s[22:23], v[127:128]
	;; [unrolled: 2-line block ×3, first 2 shown]
	v_mul_f64 v[135:136], v[112:113], s[38:39]
	v_add_f64 v[38:39], v[44:45], v[38:39]
	v_fma_f64 v[44:45], v[86:87], s[54:55], -v[119:120]
	v_mul_f64 v[119:120], v[42:43], s[58:59]
	v_add_f64 v[36:37], v[115:116], v[36:37]
	v_fma_f64 v[115:116], v[80:81], s[16:17], v[125:126]
	v_add_f64 v[32:33], v[32:33], v[46:47]
	v_add_f64 v[46:47], v[129:130], v[117:118]
	v_mul_f64 v[125:126], v[50:51], s[26:27]
	v_fma_f64 v[129:130], v[78:79], s[8:9], -v[133:134]
	v_add_f64 v[38:39], v[44:45], v[38:39]
	v_fma_f64 v[44:45], v[40:41], s[54:55], v[119:120]
	v_mul_f64 v[139:140], v[60:61], s[42:43]
	v_add_f64 v[36:37], v[115:116], v[36:37]
	v_fma_f64 v[115:116], v[76:77], s[50:51], v[131:132]
	v_fma_f64 v[117:118], v[66:67], s[48:49], v[135:136]
	;; [unrolled: 1-line block ×3, first 2 shown]
	v_mul_f64 v[123:124], v[110:111], s[8:9]
	v_add_f64 v[129:130], v[129:130], v[38:39]
	v_add_f64 v[44:45], v[0:1], v[44:45]
	v_mul_f64 v[133:134], v[106:107], s[30:31]
	v_fma_f64 v[125:126], v[48:49], s[6:7], -v[125:126]
	v_add_f64 v[38:39], v[115:116], v[36:37]
	v_fma_f64 v[36:37], v[52:53], s[58:59], v[121:122]
	v_fma_f64 v[115:116], v[40:41], s[54:55], -v[119:120]
	v_fma_f64 v[119:120], v[56:57], s[38:39], v[139:140]
	v_mul_f64 v[121:122], v[108:109], s[34:35]
	v_add_f64 v[44:45], v[131:132], v[44:45]
	v_fma_f64 v[131:132], v[58:59], s[26:27], v[137:138]
	v_add_f64 v[46:47], v[117:118], v[46:47]
	v_fma_f64 v[117:118], v[94:95], s[16:17], v[123:124]
	v_add_f64 v[36:37], v[2:3], v[36:37]
	v_add_f64 v[115:116], v[0:1], v[115:116]
	v_mul_f64 v[137:138], v[104:105], s[36:37]
	v_fma_f64 v[127:128], v[74:75], s[22:23], -v[127:128]
	v_add_f64 v[44:45], v[119:120], v[44:45]
	v_fma_f64 v[119:120], v[64:65], s[8:9], v[121:122]
	v_fma_f64 v[123:124], v[94:95], s[34:35], v[123:124]
	v_add_f64 v[46:47], v[117:118], v[46:47]
	v_add_f64 v[36:37], v[131:132], v[36:37]
	v_fma_f64 v[131:132], v[66:67], s[42:43], v[135:136]
	v_fma_f64 v[117:118], v[92:93], s[52:53], v[133:134]
	v_add_f64 v[115:116], v[125:126], v[115:116]
	v_fma_f64 v[125:126], v[56:57], s[38:39], -v[139:140]
	v_add_f64 v[44:45], v[119:120], v[44:45]
	v_fma_f64 v[119:120], v[90:91], s[30:31], v[137:138]
	v_mul_f64 v[135:136], v[102:103], s[40:41]
	v_fma_f64 v[121:122], v[64:65], s[8:9], -v[121:122]
	v_add_f64 v[131:132], v[131:132], v[36:37]
	v_add_f64 v[46:47], v[117:118], v[46:47]
	v_mul_f64 v[117:118], v[100:101], s[18:19]
	v_add_f64 v[115:116], v[125:126], v[115:116]
	v_add_f64 v[36:37], v[127:128], v[129:130]
	;; [unrolled: 1-line block ×3, first 2 shown]
	v_fma_f64 v[119:120], v[86:87], s[18:19], v[135:136]
	v_fma_f64 v[127:128], v[92:93], s[36:37], v[133:134]
	v_add_f64 v[123:124], v[123:124], v[131:132]
	v_mul_f64 v[143:144], v[98:99], s[22:23]
	v_fma_f64 v[141:142], v[88:89], s[20:21], v[117:118]
	v_mul_f64 v[125:126], v[96:97], s[24:25]
	v_add_f64 v[115:116], v[121:122], v[115:116]
	v_fma_f64 v[121:122], v[90:91], s[30:31], -v[137:138]
	v_add_f64 v[44:45], v[119:120], v[44:45]
	v_mul_f64 v[119:120], v[54:55], s[30:31]
	v_add_f64 v[123:124], v[127:128], v[123:124]
	v_fma_f64 v[117:118], v[88:89], s[40:41], v[117:118]
	v_add_f64 v[46:47], v[141:142], v[46:47]
	v_fma_f64 v[139:140], v[80:81], s[50:51], v[143:144]
	v_fma_f64 v[129:130], v[78:79], s[22:23], v[125:126]
	v_mul_f64 v[131:132], v[82:83], s[28:29]
	v_add_f64 v[115:116], v[121:122], v[115:116]
	v_fma_f64 v[121:122], v[86:87], s[18:19], -v[135:136]
	v_fma_f64 v[127:128], v[52:53], s[52:53], v[119:120]
	v_mul_f64 v[135:136], v[62:63], s[22:23]
	v_add_f64 v[117:118], v[117:118], v[123:124]
	v_fma_f64 v[123:124], v[80:81], s[24:25], v[143:144]
	v_add_f64 v[46:47], v[139:140], v[46:47]
	v_mul_f64 v[133:134], v[84:85], s[44:45]
	v_add_f64 v[44:45], v[129:130], v[44:45]
	v_fma_f64 v[129:130], v[76:77], s[46:47], v[131:132]
	v_add_f64 v[115:116], v[121:122], v[115:116]
	v_add_f64 v[121:122], v[2:3], v[127:128]
	v_fma_f64 v[127:128], v[58:59], s[24:25], v[135:136]
	v_mul_f64 v[139:140], v[112:113], s[6:7]
	v_fma_f64 v[125:126], v[78:79], s[22:23], -v[125:126]
	v_mul_f64 v[141:142], v[42:43], s[36:37]
	v_add_f64 v[117:118], v[123:124], v[117:118]
	v_fma_f64 v[123:124], v[76:77], s[44:45], v[131:132]
	v_fma_f64 v[137:138], v[74:75], s[28:29], v[133:134]
	v_add_f64 v[46:47], v[129:130], v[46:47]
	v_add_f64 v[121:122], v[127:128], v[121:122]
	v_fma_f64 v[127:128], v[66:67], s[26:27], v[139:140]
	v_add_f64 v[115:116], v[125:126], v[115:116]
	v_fma_f64 v[125:126], v[40:41], s[30:31], v[141:142]
	v_mul_f64 v[129:130], v[50:51], s[50:51]
	v_add_f64 v[117:118], v[123:124], v[117:118]
	v_fma_f64 v[119:120], v[52:53], s[36:37], v[119:120]
	v_fma_f64 v[123:124], v[40:41], s[30:31], -v[141:142]
	v_add_f64 v[44:45], v[137:138], v[44:45]
	v_add_f64 v[121:122], v[127:128], v[121:122]
	v_mul_f64 v[137:138], v[60:61], s[14:15]
	v_add_f64 v[125:126], v[0:1], v[125:126]
	v_fma_f64 v[127:128], v[48:49], s[22:23], v[129:130]
	v_fma_f64 v[135:136], v[58:59], s[50:51], v[135:136]
	v_add_f64 v[119:120], v[2:3], v[119:120]
	v_fma_f64 v[129:130], v[48:49], s[22:23], -v[129:130]
	v_add_f64 v[123:124], v[0:1], v[123:124]
	v_fma_f64 v[131:132], v[74:75], s[28:29], -v[133:134]
	v_mul_f64 v[133:134], v[110:111], s[38:39]
	v_mul_f64 v[145:146], v[108:109], s[42:43]
	v_add_f64 v[125:126], v[127:128], v[125:126]
	v_fma_f64 v[127:128], v[56:57], s[6:7], v[137:138]
	v_add_f64 v[119:120], v[135:136], v[119:120]
	v_fma_f64 v[135:136], v[66:67], s[14:15], v[139:140]
	v_add_f64 v[123:124], v[129:130], v[123:124]
	v_fma_f64 v[129:130], v[56:57], s[6:7], -v[137:138]
	v_fma_f64 v[141:142], v[94:95], s[48:49], v[133:134]
	v_mul_f64 v[143:144], v[106:107], s[28:29]
	v_mul_f64 v[139:140], v[104:105], s[44:45]
	v_add_f64 v[125:126], v[127:128], v[125:126]
	v_fma_f64 v[127:128], v[64:65], s[38:39], v[145:146]
	v_add_f64 v[119:120], v[135:136], v[119:120]
	v_fma_f64 v[133:134], v[94:95], s[42:43], v[133:134]
	v_add_f64 v[123:124], v[129:130], v[123:124]
	v_fma_f64 v[129:130], v[64:65], s[38:39], -v[145:146]
	v_add_f64 v[121:122], v[141:142], v[121:122]
	v_fma_f64 v[137:138], v[92:93], s[46:47], v[143:144]
	v_mul_f64 v[141:142], v[100:101], s[8:9]
	v_add_f64 v[125:126], v[127:128], v[125:126]
	v_fma_f64 v[127:128], v[90:91], s[28:29], v[139:140]
	v_mul_f64 v[135:136], v[102:103], s[16:17]
	v_add_f64 v[119:120], v[133:134], v[119:120]
	v_fma_f64 v[133:134], v[92:93], s[44:45], v[143:144]
	v_add_f64 v[123:124], v[129:130], v[123:124]
	v_fma_f64 v[129:130], v[90:91], s[28:29], -v[139:140]
	v_add_f64 v[121:122], v[137:138], v[121:122]
	v_fma_f64 v[137:138], v[88:89], s[34:35], v[141:142]
	v_mul_f64 v[139:140], v[98:99], s[54:55]
	v_add_f64 v[125:126], v[127:128], v[125:126]
	v_fma_f64 v[127:128], v[86:87], s[8:9], v[135:136]
	v_mul_f64 v[143:144], v[96:97], s[58:59]
	v_add_f64 v[119:120], v[133:134], v[119:120]
	v_fma_f64 v[133:134], v[88:89], s[16:17], v[141:142]
	v_add_f64 v[123:124], v[129:130], v[123:124]
	v_fma_f64 v[129:130], v[86:87], s[8:9], -v[135:136]
	v_add_f64 v[121:122], v[137:138], v[121:122]
	v_fma_f64 v[135:136], v[80:81], s[56:57], v[139:140]
	v_add_f64 v[125:126], v[127:128], v[125:126]
	v_fma_f64 v[127:128], v[78:79], s[54:55], v[143:144]
	v_mul_f64 v[137:138], v[82:83], s[18:19]
	v_mul_f64 v[141:142], v[84:85], s[40:41]
	v_add_f64 v[119:120], v[133:134], v[119:120]
	v_fma_f64 v[133:134], v[80:81], s[58:59], v[139:140]
	v_add_f64 v[123:124], v[129:130], v[123:124]
	v_fma_f64 v[129:130], v[78:79], s[54:55], -v[143:144]
	v_add_f64 v[115:116], v[131:132], v[115:116]
	v_mul_f64 v[131:132], v[54:55], s[28:29]
	v_add_f64 v[121:122], v[135:136], v[121:122]
	v_add_f64 v[125:126], v[127:128], v[125:126]
	v_fma_f64 v[127:128], v[76:77], s[20:21], v[137:138]
	v_fma_f64 v[135:136], v[74:75], s[18:19], v[141:142]
	v_add_f64 v[133:134], v[133:134], v[119:120]
	v_add_f64 v[123:124], v[129:130], v[123:124]
	v_fma_f64 v[129:130], v[76:77], s[40:41], v[137:138]
	v_fma_f64 v[137:138], v[74:75], s[18:19], -v[141:142]
	v_fma_f64 v[139:140], v[52:53], s[46:47], v[131:132]
	v_mul_f64 v[141:142], v[62:63], s[54:55]
	v_add_f64 v[121:122], v[127:128], v[121:122]
	v_add_f64 v[119:120], v[135:136], v[125:126]
	v_mul_f64 v[54:55], v[54:55], s[8:9]
	v_mul_f64 v[127:128], v[42:43], s[46:47]
	v_add_f64 v[125:126], v[129:130], v[133:134]
	v_mul_f64 v[135:136], v[112:113], s[22:23]
	v_add_f64 v[129:130], v[2:3], v[139:140]
	v_fma_f64 v[133:134], v[58:59], s[58:59], v[141:142]
	v_add_f64 v[123:124], v[137:138], v[123:124]
	v_fma_f64 v[131:132], v[52:53], s[44:45], v[131:132]
	v_fma_f64 v[137:138], v[52:53], s[34:35], v[54:55]
	v_fma_f64 v[139:140], v[40:41], s[28:29], -v[127:128]
	v_mul_f64 v[143:144], v[50:51], s[58:59]
	v_fma_f64 v[52:53], v[52:53], s[16:17], v[54:55]
	v_mul_f64 v[42:43], v[42:43], s[16:17]
	v_add_f64 v[54:55], v[133:134], v[129:130]
	v_fma_f64 v[129:130], v[66:67], s[50:51], v[135:136]
	v_mul_f64 v[133:134], v[110:111], s[6:7]
	v_fma_f64 v[127:128], v[40:41], s[28:29], v[127:128]
	v_add_f64 v[139:140], v[0:1], v[139:140]
	v_fma_f64 v[145:146], v[48:49], s[54:55], -v[143:144]
	v_mul_f64 v[147:148], v[60:61], s[50:51]
	v_fma_f64 v[149:150], v[40:41], s[8:9], v[42:43]
	v_fma_f64 v[40:41], v[40:41], s[8:9], -v[42:43]
	v_add_f64 v[42:43], v[129:130], v[54:55]
	v_fma_f64 v[54:55], v[94:95], s[26:27], v[133:134]
	v_mul_f64 v[129:130], v[106:107], s[18:19]
	v_mul_f64 v[151:152], v[108:109], s[26:27]
	v_add_f64 v[139:140], v[145:146], v[139:140]
	v_fma_f64 v[145:146], v[56:57], s[22:23], -v[147:148]
	v_mul_f64 v[153:154], v[100:101], s[38:39]
	v_add_f64 v[131:132], v[2:3], v[131:132]
	v_add_f64 v[137:138], v[2:3], v[137:138]
	;; [unrolled: 1-line block ×3, first 2 shown]
	v_fma_f64 v[54:55], v[92:93], s[20:21], v[129:130]
	v_mul_f64 v[155:156], v[104:105], s[20:21]
	v_add_f64 v[2:3], v[2:3], v[52:53]
	v_add_f64 v[139:140], v[145:146], v[139:140]
	v_fma_f64 v[145:146], v[64:65], s[6:7], -v[151:152]
	v_mul_f64 v[52:53], v[62:63], s[28:29]
	v_mul_f64 v[50:51], v[50:51], s[46:47]
	v_add_f64 v[127:128], v[0:1], v[127:128]
	v_add_f64 v[42:43], v[54:55], v[42:43]
	v_fma_f64 v[54:55], v[88:89], s[42:43], v[153:154]
	v_add_f64 v[149:150], v[0:1], v[149:150]
	v_add_f64 v[0:1], v[0:1], v[40:41]
	;; [unrolled: 1-line block ×3, first 2 shown]
	v_fma_f64 v[62:63], v[90:91], s[18:19], -v[155:156]
	v_mul_f64 v[139:140], v[102:103], s[42:43]
	v_fma_f64 v[145:146], v[58:59], s[46:47], v[52:53]
	v_mul_f64 v[112:113], v[112:113], s[30:31]
	v_add_f64 v[42:43], v[54:55], v[42:43]
	v_fma_f64 v[54:55], v[48:49], s[28:29], -v[50:51]
	v_mul_f64 v[60:61], v[60:61], s[36:37]
	v_mul_f64 v[110:111], v[110:111], s[54:55]
	v_add_f64 v[40:41], v[62:63], v[40:41]
	v_fma_f64 v[62:63], v[86:87], s[38:39], -v[139:140]
	v_add_f64 v[2:3], v[145:146], v[2:3]
	v_fma_f64 v[145:146], v[66:67], s[36:37], v[112:113]
	v_mul_f64 v[108:109], v[108:109], s[58:59]
	v_add_f64 v[0:1], v[54:55], v[0:1]
	v_fma_f64 v[54:55], v[56:57], s[30:31], -v[60:61]
	v_mul_f64 v[161:162], v[96:97], s[52:53]
	v_mul_f64 v[106:107], v[106:107], s[38:39]
	v_add_f64 v[40:41], v[62:63], v[40:41]
	v_fma_f64 v[62:63], v[94:95], s[58:59], v[110:111]
	v_add_f64 v[2:3], v[145:146], v[2:3]
	v_mul_f64 v[104:105], v[104:105], s[48:49]
	v_fma_f64 v[141:142], v[58:59], s[56:57], v[141:142]
	v_add_f64 v[0:1], v[54:55], v[0:1]
	v_fma_f64 v[54:55], v[64:65], s[54:55], -v[108:109]
	v_fma_f64 v[145:146], v[78:79], s[30:31], -v[161:162]
	v_mul_f64 v[100:101], v[100:101], s[22:23]
	v_mul_f64 v[157:158], v[98:99], s[30:31]
	v_add_f64 v[2:3], v[62:63], v[2:3]
	v_fma_f64 v[62:63], v[92:93], s[48:49], v[106:107]
	v_mul_f64 v[98:99], v[98:99], s[18:19]
	v_fma_f64 v[52:53], v[58:59], s[44:45], v[52:53]
	v_add_f64 v[0:1], v[54:55], v[0:1]
	v_fma_f64 v[54:55], v[90:91], s[38:39], -v[104:105]
	v_add_f64 v[145:146], v[145:146], v[40:41]
	v_mul_f64 v[40:41], v[102:103], s[50:51]
	v_add_f64 v[102:103], v[141:142], v[131:132]
	v_fma_f64 v[131:132], v[66:67], s[24:25], v[135:136]
	v_add_f64 v[2:3], v[62:63], v[2:3]
	v_fma_f64 v[62:63], v[88:89], s[50:51], v[100:101]
	v_fma_f64 v[58:59], v[56:57], s[22:23], v[147:148]
	v_add_f64 v[0:1], v[54:55], v[0:1]
	v_fma_f64 v[54:55], v[48:49], s[54:55], v[143:144]
	v_fma_f64 v[48:49], v[48:49], s[28:29], v[50:51]
	;; [unrolled: 1-line block ×3, first 2 shown]
	v_add_f64 v[102:103], v[131:132], v[102:103]
	v_fma_f64 v[131:132], v[94:95], s[14:15], v[133:134]
	v_add_f64 v[2:3], v[62:63], v[2:3]
	v_fma_f64 v[62:63], v[80:81], s[40:41], v[98:99]
	v_add_f64 v[52:53], v[52:53], v[137:138]
	v_add_f64 v[54:55], v[54:55], v[127:128]
	v_fma_f64 v[56:57], v[56:57], s[30:31], v[60:61]
	v_add_f64 v[48:49], v[48:49], v[149:150]
	v_fma_f64 v[129:130], v[92:93], s[40:41], v[129:130]
	v_add_f64 v[102:103], v[131:132], v[102:103]
	v_fma_f64 v[135:136], v[86:87], s[22:23], -v[40:41]
	v_mul_f64 v[96:97], v[96:97], s[40:41]
	v_add_f64 v[52:53], v[66:67], v[52:53]
	v_add_f64 v[50:51], v[58:59], v[54:55]
	v_fma_f64 v[54:55], v[64:65], s[6:7], v[151:152]
	v_add_f64 v[58:59], v[62:63], v[2:3]
	v_fma_f64 v[62:63], v[94:95], s[56:57], v[110:111]
	v_fma_f64 v[64:65], v[64:65], s[54:55], v[108:109]
	v_add_f64 v[48:49], v[56:57], v[48:49]
	v_add_f64 v[2:3], v[129:130], v[102:103]
	v_fma_f64 v[66:67], v[92:93], s[42:43], v[106:107]
	v_fma_f64 v[56:57], v[88:89], s[48:49], v[153:154]
	v_add_f64 v[50:51], v[54:55], v[50:51]
	v_fma_f64 v[54:55], v[90:91], s[18:19], v[155:156]
	v_add_f64 v[52:53], v[62:63], v[52:53]
	v_fma_f64 v[62:63], v[90:91], s[38:39], v[104:105]
	v_add_f64 v[48:49], v[64:65], v[48:49]
	v_fma_f64 v[90:91], v[86:87], s[38:39], v[139:140]
	v_fma_f64 v[40:41], v[86:87], s[22:23], v[40:41]
	v_add_f64 v[2:3], v[56:57], v[2:3]
	v_fma_f64 v[56:57], v[88:89], s[24:25], v[100:101]
	v_add_f64 v[50:51], v[54:55], v[50:51]
	v_add_f64 v[52:53], v[66:67], v[52:53]
	v_fma_f64 v[159:160], v[80:81], s[52:53], v[157:158]
	v_add_f64 v[48:49], v[62:63], v[48:49]
	v_add_f64 v[0:1], v[135:136], v[0:1]
	v_fma_f64 v[127:128], v[78:79], s[18:19], -v[96:97]
	v_mul_f64 v[60:61], v[82:83], s[8:9]
	v_mul_f64 v[64:65], v[82:83], s[6:7]
	;; [unrolled: 1-line block ×4, first 2 shown]
	v_add_f64 v[50:51], v[90:91], v[50:51]
	v_fma_f64 v[62:63], v[80:81], s[36:37], v[157:158]
	v_fma_f64 v[66:67], v[78:79], s[30:31], v[161:162]
	;; [unrolled: 1-line block ×3, first 2 shown]
	v_add_f64 v[52:53], v[56:57], v[52:53]
	v_fma_f64 v[78:79], v[78:79], s[18:19], v[96:97]
	v_add_f64 v[40:41], v[40:41], v[48:49]
	v_add_f64 v[42:43], v[159:160], v[42:43]
	;; [unrolled: 1-line block ×3, first 2 shown]
	v_fma_f64 v[54:55], v[76:77], s[34:35], v[60:61]
	v_fma_f64 v[84:85], v[76:77], s[26:27], v[64:65]
	v_fma_f64 v[56:57], v[74:75], s[6:7], -v[82:83]
	v_fma_f64 v[94:95], v[74:75], s[8:9], -v[92:93]
	v_add_f64 v[48:49], v[62:63], v[2:3]
	v_add_f64 v[62:63], v[66:67], v[50:51]
	v_fma_f64 v[50:51], v[76:77], s[16:17], v[60:61]
	v_fma_f64 v[60:61], v[76:77], s[14:15], v[64:65]
	v_add_f64 v[52:53], v[80:81], v[52:53]
	v_fma_f64 v[64:65], v[74:75], s[8:9], v[92:93]
	v_fma_f64 v[66:67], v[74:75], s[6:7], v[82:83]
	v_add_f64 v[74:75], v[78:79], v[40:41]
	v_add_f64 v[2:3], v[54:55], v[42:43]
	;; [unrolled: 1-line block ×5, first 2 shown]
	v_lshl_add_u32 v56, v70, 8, v114
	v_add_f64 v[50:51], v[50:51], v[48:49]
	v_add_f64 v[48:49], v[64:65], v[62:63]
	;; [unrolled: 1-line block ×4, first 2 shown]
	ds_write_b128 v56, v[4:7]
	ds_write_b128 v56, v[40:43] offset:16
	ds_write_b128 v56, v[0:3] offset:32
	;; [unrolled: 1-line block ×16, first 2 shown]
.LBB0_15:
	s_or_b64 exec, exec, s[4:5]
	s_movk_i32 s4, 0xf1
	v_mul_lo_u16_sdwa v3, v70, s4 dst_sel:DWORD dst_unused:UNUSED_PAD src0_sel:BYTE_0 src1_sel:DWORD
	v_lshrrev_b16_e32 v67, 12, v3
	v_mul_lo_u16_e32 v3, 17, v67
	v_sub_u16_e32 v71, v70, v3
	v_mov_b32_e32 v106, 5
	v_add_u32_e32 v2, 0x99, v70
	v_lshlrev_b32_sdwa v11, v106, v71 dst_sel:DWORD dst_unused:UNUSED_PAD src0_sel:DWORD src1_sel:BYTE_0
	s_mov_b32 s4, 0xf0f1
	s_load_dwordx2 s[2:3], s[2:3], 0x0
	s_waitcnt lgkmcnt(0)
	s_barrier
	global_load_dwordx4 v[3:6], v11, s[12:13] offset:16
	global_load_dwordx4 v[7:10], v11, s[12:13]
	v_mul_u32_u24_sdwa v11, v2, s4 dst_sel:DWORD dst_unused:UNUSED_PAD src0_sel:WORD_0 src1_sel:DWORD
	v_lshrrev_b32_e32 v107, 20, v11
	v_mul_lo_u16_e32 v11, 17, v107
	v_sub_u16_e32 v108, v2, v11
	v_add_u32_e32 v0, 0x132, v70
	v_lshlrev_b32_e32 v19, 5, v108
	global_load_dwordx4 v[11:14], v19, s[12:13] offset:16
	global_load_dwordx4 v[15:18], v19, s[12:13]
	v_mul_u32_u24_sdwa v19, v0, s4 dst_sel:DWORD dst_unused:UNUSED_PAD src0_sel:WORD_0 src1_sel:DWORD
	v_lshrrev_b32_e32 v109, 20, v19
	v_mul_lo_u16_e32 v19, 17, v109
	v_sub_u16_e32 v110, v0, v19
	v_add_u32_e32 v1, 0x1cb, v70
	v_lshlrev_b32_e32 v27, 5, v110
	global_load_dwordx4 v[19:22], v27, s[12:13] offset:16
	global_load_dwordx4 v[23:26], v27, s[12:13]
	v_mul_u32_u24_sdwa v27, v1, s4 dst_sel:DWORD dst_unused:UNUSED_PAD src0_sel:WORD_0 src1_sel:DWORD
	v_lshrrev_b32_e32 v111, 20, v27
	v_mul_lo_u16_e32 v27, 17, v111
	v_sub_u16_e32 v112, v1, v27
	v_lshlrev_b32_e32 v35, 5, v112
	global_load_dwordx4 v[27:30], v35, s[12:13]
	global_load_dwordx4 v[31:34], v35, s[12:13] offset:16
	ds_read_b128 v[35:38], v114
	ds_read_b128 v[39:42], v114 offset:2448
	ds_read_b128 v[43:46], v114 offset:9792
	;; [unrolled: 1-line block ×11, first 2 shown]
	s_mov_b32 s4, 0xe8584caa
	s_mov_b32 s5, 0x3febb67a
	;; [unrolled: 1-line block ×4, first 2 shown]
	s_waitcnt vmcnt(0) lgkmcnt(0)
	s_barrier
	s_movk_i32 s8, 0xa1
	s_movk_i32 s9, 0x1000
	v_mul_f64 v[92:93], v[53:54], v[5:6]
	v_mul_f64 v[90:91], v[45:46], v[9:10]
	;; [unrolled: 1-line block ×8, first 2 shown]
	v_fma_f64 v[43:44], v[43:44], v[7:8], -v[90:91]
	v_fma_f64 v[7:8], v[45:46], v[7:8], v[9:10]
	v_fma_f64 v[9:10], v[51:52], v[3:4], -v[92:93]
	v_mul_f64 v[100:101], v[84:85], v[21:22]
	v_mul_f64 v[98:99], v[76:77], v[25:26]
	;; [unrolled: 1-line block ×4, first 2 shown]
	v_fma_f64 v[5:6], v[53:54], v[3:4], v[5:6]
	v_fma_f64 v[3:4], v[47:48], v[15:16], -v[94:95]
	v_fma_f64 v[15:16], v[49:50], v[15:16], v[17:18]
	v_mul_f64 v[104:105], v[88:89], v[33:34]
	v_mul_f64 v[33:34], v[86:87], v[33:34]
	v_fma_f64 v[17:18], v[55:56], v[11:12], -v[96:97]
	v_mul_f64 v[102:103], v[80:81], v[29:30]
	v_mul_f64 v[29:30], v[78:79], v[29:30]
	v_fma_f64 v[11:12], v[57:58], v[11:12], v[13:14]
	v_fma_f64 v[45:46], v[74:75], v[23:24], -v[98:99]
	v_fma_f64 v[47:48], v[76:77], v[23:24], v[25:26]
	v_fma_f64 v[49:50], v[82:83], v[19:20], -v[100:101]
	;; [unrolled: 2-line block ×3, first 2 shown]
	v_fma_f64 v[57:58], v[88:89], v[31:32], v[33:34]
	v_add_f64 v[13:14], v[35:36], v[43:44]
	v_add_f64 v[19:20], v[43:44], v[9:10]
	v_add_f64 v[21:22], v[7:8], -v[5:6]
	v_add_f64 v[23:24], v[37:38], v[7:8]
	v_add_f64 v[7:8], v[7:8], v[5:6]
	;; [unrolled: 1-line block ×3, first 2 shown]
	v_fma_f64 v[53:54], v[78:79], v[27:28], -v[102:103]
	v_fma_f64 v[29:30], v[80:81], v[27:28], v[29:30]
	v_add_f64 v[25:26], v[43:44], -v[9:10]
	v_add_f64 v[27:28], v[39:40], v[3:4]
	v_add_f64 v[33:34], v[15:16], -v[11:12]
	v_add_f64 v[43:44], v[41:42], v[15:16]
	v_add_f64 v[15:16], v[15:16], v[11:12]
	v_add_f64 v[74:75], v[3:4], -v[17:18]
	v_add_f64 v[3:4], v[13:14], v[9:10]
	v_fma_f64 v[13:14], v[19:20], -0.5, v[35:36]
	v_add_f64 v[5:6], v[23:24], v[5:6]
	v_fma_f64 v[19:20], v[7:8], -0.5, v[37:38]
	v_fma_f64 v[23:24], v[31:32], -0.5, v[39:40]
	v_add_f64 v[78:79], v[45:46], v[49:50]
	v_add_f64 v[82:83], v[47:48], v[51:52]
	;; [unrolled: 1-line block ×5, first 2 shown]
	v_fma_f64 v[27:28], v[15:16], -0.5, v[41:42]
	v_fma_f64 v[11:12], v[21:22], s[4:5], v[13:14]
	v_fma_f64 v[15:16], v[21:22], s[6:7], v[13:14]
	;; [unrolled: 1-line block ×6, first 2 shown]
	v_add_f64 v[33:34], v[53:54], v[55:56]
	v_add_f64 v[37:38], v[29:30], v[57:58]
	;; [unrolled: 1-line block ×3, first 2 shown]
	v_add_f64 v[80:81], v[47:48], -v[51:52]
	v_fma_f64 v[35:36], v[78:79], -0.5, v[59:60]
	v_fma_f64 v[41:42], v[82:83], -0.5, v[61:62]
	v_add_f64 v[43:44], v[45:46], -v[49:50]
	v_add_f64 v[45:46], v[63:64], v[53:54]
	v_add_f64 v[59:60], v[65:66], v[29:30]
	v_fma_f64 v[21:22], v[74:75], s[6:7], v[27:28]
	v_fma_f64 v[25:26], v[74:75], s[4:5], v[27:28]
	v_add_f64 v[27:28], v[76:77], v[49:50]
	v_fma_f64 v[47:48], v[33:34], -0.5, v[63:64]
	v_add_f64 v[49:50], v[29:30], -v[57:58]
	v_fma_f64 v[61:62], v[37:38], -0.5, v[65:66]
	v_add_f64 v[53:54], v[53:54], -v[55:56]
	v_add_f64 v[29:30], v[39:40], v[51:52]
	v_fma_f64 v[31:32], v[80:81], s[4:5], v[35:36]
	v_fma_f64 v[33:34], v[43:44], s[6:7], v[41:42]
	v_mul_u32_u24_e32 v51, 0x330, v67
	v_mov_b32_e32 v67, 4
	v_fma_f64 v[35:36], v[80:81], s[6:7], v[35:36]
	v_fma_f64 v[37:38], v[43:44], s[4:5], v[41:42]
	v_add_f64 v[39:40], v[45:46], v[55:56]
	v_add_f64 v[41:42], v[59:60], v[57:58]
	v_lshlrev_b32_sdwa v52, v67, v71 dst_sel:DWORD dst_unused:UNUSED_PAD src0_sel:DWORD src1_sel:BYTE_0
	v_fma_f64 v[43:44], v[49:50], s[4:5], v[47:48]
	v_fma_f64 v[45:46], v[53:54], s[6:7], v[61:62]
	v_add3_u32 v51, 0, v51, v52
	v_fma_f64 v[47:48], v[49:50], s[6:7], v[47:48]
	v_fma_f64 v[49:50], v[53:54], s[4:5], v[61:62]
	ds_write_b128 v51, v[3:6]
	ds_write_b128 v51, v[11:14] offset:272
	ds_write_b128 v51, v[15:18] offset:544
	v_mul_u32_u24_e32 v3, 0x330, v107
	v_lshlrev_b32_e32 v4, 4, v108
	v_add3_u32 v3, 0, v3, v4
	ds_write_b128 v3, v[7:10]
	ds_write_b128 v3, v[19:22] offset:272
	ds_write_b128 v3, v[23:26] offset:544
	v_mul_u32_u24_e32 v3, 0x330, v109
	v_lshlrev_b32_e32 v4, 4, v110
	v_add3_u32 v3, 0, v3, v4
	;; [unrolled: 6-line block ×3, first 2 shown]
	ds_write_b128 v3, v[39:42]
	ds_write_b128 v3, v[43:46] offset:272
	ds_write_b128 v3, v[47:50] offset:544
	v_mul_lo_u16_sdwa v3, v70, s8 dst_sel:DWORD dst_unused:UNUSED_PAD src0_sel:BYTE_0 src1_sel:DWORD
	v_lshrrev_b16_e32 v71, 13, v3
	v_mul_lo_u16_e32 v3, 51, v71
	v_sub_u16_e32 v96, v70, v3
	v_lshlrev_b32_sdwa v11, v106, v96 dst_sel:DWORD dst_unused:UNUSED_PAD src0_sel:DWORD src1_sel:BYTE_0
	s_waitcnt lgkmcnt(0)
	s_barrier
	global_load_dwordx4 v[3:6], v11, s[12:13] offset:544
	global_load_dwordx4 v[7:10], v11, s[12:13] offset:560
	s_mov_b32 s8, 0xa0a1
	v_mul_u32_u24_sdwa v11, v2, s8 dst_sel:DWORD dst_unused:UNUSED_PAD src0_sel:WORD_0 src1_sel:DWORD
	v_lshrrev_b32_e32 v97, 21, v11
	v_mul_lo_u16_e32 v11, 51, v97
	v_sub_u16_e32 v98, v2, v11
	v_lshlrev_b32_e32 v2, 5, v98
	global_load_dwordx4 v[11:14], v2, s[12:13] offset:544
	global_load_dwordx4 v[15:18], v2, s[12:13] offset:560
	v_mul_u32_u24_sdwa v2, v0, s8 dst_sel:DWORD dst_unused:UNUSED_PAD src0_sel:WORD_0 src1_sel:DWORD
	v_lshrrev_b32_e32 v99, 21, v2
	v_mul_lo_u16_e32 v2, 51, v99
	v_sub_u16_e32 v100, v0, v2
	v_lshlrev_b32_e32 v2, 5, v100
	global_load_dwordx4 v[19:22], v2, s[12:13] offset:544
	global_load_dwordx4 v[23:26], v2, s[12:13] offset:560
	;; [unrolled: 7-line block ×3, first 2 shown]
	ds_read_b128 v[35:38], v114
	ds_read_b128 v[39:42], v114 offset:2448
	ds_read_b128 v[43:46], v114 offset:9792
	;; [unrolled: 1-line block ×11, first 2 shown]
	s_waitcnt vmcnt(0) lgkmcnt(0)
	s_barrier
	s_movk_i32 s8, 0x358b
	v_add_u32_e32 v103, 0x264, v70
	v_mul_f64 v[90:91], v[45:46], v[5:6]
	v_mul_f64 v[5:6], v[43:44], v[5:6]
	;; [unrolled: 1-line block ×5, first 2 shown]
	v_fma_f64 v[43:44], v[43:44], v[3:4], -v[90:91]
	v_fma_f64 v[2:3], v[45:46], v[3:4], v[5:6]
	v_mul_f64 v[4:5], v[47:48], v[13:14]
	v_fma_f64 v[13:14], v[51:52], v[7:8], -v[92:93]
	v_fma_f64 v[8:9], v[53:54], v[7:8], v[9:10]
	v_mul_f64 v[6:7], v[55:56], v[17:18]
	v_mul_f64 v[45:46], v[57:58], v[17:18]
	v_fma_f64 v[17:18], v[47:48], v[11:12], -v[94:95]
	v_mul_f64 v[47:48], v[76:77], v[21:22]
	v_mul_f64 v[21:22], v[74:75], v[21:22]
	v_fma_f64 v[49:50], v[49:50], v[11:12], v[4:5]
	v_mul_f64 v[4:5], v[84:85], v[25:26]
	v_mul_f64 v[10:11], v[82:83], v[25:26]
	v_fma_f64 v[25:26], v[57:58], v[15:16], v[6:7]
	v_mul_f64 v[6:7], v[80:81], v[29:30]
	v_fma_f64 v[45:46], v[55:56], v[15:16], -v[45:46]
	v_fma_f64 v[47:48], v[74:75], v[19:20], -v[47:48]
	v_fma_f64 v[51:52], v[76:77], v[19:20], v[21:22]
	v_mul_f64 v[15:16], v[78:79], v[29:30]
	v_fma_f64 v[53:54], v[82:83], v[23:24], -v[4:5]
	v_add_f64 v[4:5], v[43:44], v[13:14]
	v_add_f64 v[19:20], v[35:36], v[43:44]
	v_fma_f64 v[55:56], v[84:85], v[23:24], v[10:11]
	v_mul_f64 v[10:11], v[88:89], v[33:34]
	v_fma_f64 v[57:58], v[78:79], v[27:28], -v[6:7]
	v_mul_f64 v[6:7], v[86:87], v[33:34]
	v_add_f64 v[21:22], v[2:3], -v[8:9]
	v_fma_f64 v[28:29], v[80:81], v[27:28], v[15:16]
	v_fma_f64 v[4:5], v[4:5], -0.5, v[35:36]
	v_add_f64 v[15:16], v[2:3], v[8:9]
	v_add_f64 v[23:24], v[37:38], v[2:3]
	v_add_f64 v[2:3], v[19:20], v[13:14]
	v_add_f64 v[19:20], v[17:18], v[45:46]
	v_fma_f64 v[74:75], v[86:87], v[31:32], -v[10:11]
	v_fma_f64 v[76:77], v[88:89], v[31:32], v[6:7]
	v_add_f64 v[12:13], v[43:44], -v[13:14]
	v_fma_f64 v[6:7], v[21:22], s[4:5], v[4:5]
	v_fma_f64 v[10:11], v[21:22], s[6:7], v[4:5]
	v_add_f64 v[21:22], v[49:50], v[25:26]
	v_fma_f64 v[15:16], v[15:16], -0.5, v[37:38]
	v_add_f64 v[4:5], v[23:24], v[8:9]
	v_add_f64 v[23:24], v[39:40], v[17:18]
	v_fma_f64 v[30:31], v[19:20], -0.5, v[39:40]
	v_add_f64 v[32:33], v[49:50], -v[25:26]
	v_add_f64 v[34:35], v[47:48], v[53:54]
	v_add_f64 v[36:37], v[41:42], v[49:50]
	v_fma_f64 v[38:39], v[21:22], -0.5, v[41:42]
	v_add_f64 v[40:41], v[17:18], -v[45:46]
	v_fma_f64 v[8:9], v[12:13], s[6:7], v[15:16]
	v_fma_f64 v[12:13], v[12:13], s[4:5], v[15:16]
	v_add_f64 v[14:15], v[23:24], v[45:46]
	v_fma_f64 v[18:19], v[32:33], s[4:5], v[30:31]
	v_add_f64 v[42:43], v[59:60], v[47:48]
	v_fma_f64 v[34:35], v[34:35], -0.5, v[59:60]
	v_add_f64 v[44:45], v[51:52], -v[55:56]
	v_fma_f64 v[22:23], v[32:33], s[6:7], v[30:31]
	v_add_f64 v[32:33], v[51:52], v[55:56]
	v_add_f64 v[16:17], v[36:37], v[25:26]
	;; [unrolled: 1-line block ×3, first 2 shown]
	v_fma_f64 v[20:21], v[40:41], s[6:7], v[38:39]
	v_fma_f64 v[24:25], v[40:41], s[4:5], v[38:39]
	v_add_f64 v[38:39], v[28:29], v[76:77]
	v_add_f64 v[40:41], v[61:62], v[51:52]
	;; [unrolled: 1-line block ×3, first 2 shown]
	v_fma_f64 v[30:31], v[44:45], s[4:5], v[34:35]
	v_fma_f64 v[34:35], v[44:45], s[6:7], v[34:35]
	v_fma_f64 v[42:43], v[32:33], -0.5, v[61:62]
	v_add_f64 v[44:45], v[47:48], -v[53:54]
	v_add_f64 v[46:47], v[63:64], v[57:58]
	v_fma_f64 v[48:49], v[36:37], -0.5, v[63:64]
	v_add_f64 v[50:51], v[28:29], -v[76:77]
	v_add_f64 v[52:53], v[65:66], v[28:29]
	v_fma_f64 v[59:60], v[38:39], -0.5, v[65:66]
	v_add_f64 v[57:58], v[57:58], -v[74:75]
	v_add_f64 v[28:29], v[40:41], v[55:56]
	v_fma_f64 v[32:33], v[44:45], s[6:7], v[42:43]
	v_fma_f64 v[36:37], v[44:45], s[4:5], v[42:43]
	v_add_f64 v[38:39], v[46:47], v[74:75]
	v_fma_f64 v[42:43], v[50:51], s[4:5], v[48:49]
	v_fma_f64 v[46:47], v[50:51], s[6:7], v[48:49]
	v_add_f64 v[40:41], v[52:53], v[76:77]
	v_mul_u32_u24_e32 v50, 0x990, v71
	v_lshlrev_b32_sdwa v51, v67, v96 dst_sel:DWORD dst_unused:UNUSED_PAD src0_sel:DWORD src1_sel:BYTE_0
	v_fma_f64 v[44:45], v[57:58], s[6:7], v[59:60]
	v_add3_u32 v50, 0, v50, v51
	v_fma_f64 v[48:49], v[57:58], s[4:5], v[59:60]
	ds_write_b128 v50, v[2:5]
	ds_write_b128 v50, v[6:9] offset:816
	ds_write_b128 v50, v[10:13] offset:1632
	v_mul_u32_u24_e32 v2, 0x990, v97
	v_lshlrev_b32_e32 v3, 4, v98
	v_add3_u32 v2, 0, v2, v3
	ds_write_b128 v2, v[14:17]
	ds_write_b128 v2, v[18:21] offset:816
	ds_write_b128 v2, v[22:25] offset:1632
	v_mul_u32_u24_e32 v2, 0x990, v99
	v_lshlrev_b32_e32 v3, 4, v100
	v_add3_u32 v2, 0, v2, v3
	;; [unrolled: 6-line block ×3, first 2 shown]
	ds_write_b128 v2, v[38:41]
	ds_write_b128 v2, v[42:45] offset:816
	ds_write_b128 v2, v[46:49] offset:1632
	v_mul_u32_u24_sdwa v2, v0, s8 dst_sel:DWORD dst_unused:UNUSED_PAD src0_sel:WORD_0 src1_sel:DWORD
	v_lshrrev_b32_e32 v2, 21, v2
	v_mul_lo_u16_e32 v2, 0x99, v2
	v_mov_b32_e32 v71, 0
	v_sub_u16_e32 v0, v0, v2
	v_lshlrev_b64 v[8:9], 4, v[70:71]
	v_lshlrev_b32_e32 v86, 4, v0
	v_mul_u32_u24_sdwa v0, v1, s8 dst_sel:DWORD dst_unused:UNUSED_PAD src0_sel:WORD_0 src1_sel:DWORD
	v_lshrrev_b32_e32 v0, 21, v0
	v_mov_b32_e32 v71, s13
	v_add_co_u32_e32 v6, vcc, s12, v8
	v_mul_lo_u16_e32 v0, 0x99, v0
	v_addc_co_u32_e32 v7, vcc, v71, v9, vcc
	v_sub_u16_e32 v0, v1, v0
	s_waitcnt lgkmcnt(0)
	s_barrier
	global_load_dwordx4 v[2:5], v[6:7], off offset:2176
	global_load_dwordx4 v[10:13], v86, s[12:13] offset:2176
	v_lshlrev_b32_e32 v87, 4, v0
	v_mul_u32_u24_sdwa v0, v103, s8 dst_sel:DWORD dst_unused:UNUSED_PAD src0_sel:WORD_0 src1_sel:DWORD
	global_load_dwordx4 v[14:17], v87, s[12:13] offset:2176
	v_lshrrev_b32_e32 v0, 21, v0
	v_mul_lo_u16_e32 v0, 0x99, v0
	v_add_u32_e32 v22, 0x2fd, v70
	v_sub_u16_e32 v0, v103, v0
	v_lshlrev_b32_e32 v88, 4, v0
	global_load_dwordx4 v[18:21], v88, s[12:13] offset:2176
	v_mul_u32_u24_sdwa v0, v22, s8 dst_sel:DWORD dst_unused:UNUSED_PAD src0_sel:WORD_0 src1_sel:DWORD
	v_lshrrev_b32_e32 v0, 21, v0
	v_mul_lo_u16_e32 v0, 0x99, v0
	v_sub_u16_e32 v0, v22, v0
	v_lshlrev_b32_e32 v89, 4, v0
	global_load_dwordx4 v[22:25], v89, s[12:13] offset:2176
	ds_read_b128 v[26:29], v114
	ds_read_b128 v[30:33], v114 offset:2448
	ds_read_b128 v[34:37], v114 offset:14688
	;; [unrolled: 1-line block ×11, first 2 shown]
	s_waitcnt vmcnt(0) lgkmcnt(0)
	s_barrier
	s_movk_i32 s8, 0x1210
	v_mul_f64 v[0:1], v[36:37], v[4:5]
	v_mul_f64 v[6:7], v[34:35], v[4:5]
	;; [unrolled: 1-line block ×8, first 2 shown]
	v_fma_f64 v[0:1], v[34:35], v[2:3], -v[0:1]
	v_fma_f64 v[6:7], v[36:37], v[2:3], v[6:7]
	v_fma_f64 v[34:35], v[38:39], v[2:3], -v[66:67]
	v_fma_f64 v[36:37], v[40:41], v[2:3], v[4:5]
	v_fma_f64 v[38:39], v[50:51], v[10:11], -v[82:83]
	v_fma_f64 v[40:41], v[52:53], v[10:11], v[12:13]
	v_mul_f64 v[10:11], v[76:77], v[20:21]
	v_mul_f64 v[12:13], v[74:75], v[20:21]
	v_fma_f64 v[50:51], v[54:55], v[14:15], -v[84:85]
	v_fma_f64 v[52:53], v[56:57], v[14:15], v[16:17]
	v_mul_f64 v[14:15], v[80:81], v[24:25]
	v_mul_f64 v[16:17], v[78:79], v[24:25]
	v_add_f64 v[0:1], v[26:27], -v[0:1]
	v_add_f64 v[2:3], v[28:29], -v[6:7]
	;; [unrolled: 1-line block ×4, first 2 shown]
	v_fma_f64 v[34:35], v[74:75], v[18:19], -v[10:11]
	v_fma_f64 v[36:37], v[76:77], v[18:19], v[12:13]
	v_fma_f64 v[54:55], v[78:79], v[22:23], -v[14:15]
	v_fma_f64 v[56:57], v[80:81], v[22:23], v[16:17]
	v_add_f64 v[18:19], v[42:43], -v[38:39]
	v_add_f64 v[20:21], v[44:45], -v[40:41]
	v_add_f64 v[22:23], v[46:47], -v[50:51]
	v_add_f64 v[24:25], v[48:49], -v[52:53]
	v_fma_f64 v[10:11], v[26:27], 2.0, -v[0:1]
	v_fma_f64 v[12:13], v[28:29], 2.0, -v[2:3]
	v_add_f64 v[26:27], v[58:59], -v[34:35]
	v_add_f64 v[28:29], v[60:61], -v[36:37]
	v_fma_f64 v[14:15], v[30:31], 2.0, -v[4:5]
	v_fma_f64 v[16:17], v[32:33], 2.0, -v[6:7]
	v_add_f64 v[30:31], v[62:63], -v[54:55]
	v_add_f64 v[32:33], v[64:65], -v[56:57]
	v_fma_f64 v[34:35], v[42:43], 2.0, -v[18:19]
	v_fma_f64 v[36:37], v[44:45], 2.0, -v[20:21]
	;; [unrolled: 1-line block ×8, first 2 shown]
	ds_write_b128 v114, v[10:13]
	ds_write_b128 v114, v[0:3] offset:2448
	ds_write_b128 v114, v[14:17] offset:4896
	;; [unrolled: 1-line block ×3, first 2 shown]
	v_add_u32_e32 v0, 0, v86
	ds_write_b128 v0, v[34:37] offset:9792
	ds_write_b128 v0, v[18:21] offset:12240
	v_add_u32_e32 v0, 0, v87
	ds_write_b128 v0, v[38:41] offset:14688
	ds_write_b128 v0, v[22:25] offset:17136
	;; [unrolled: 3-line block ×4, first 2 shown]
	v_mul_u32_u24_e32 v0, 5, v70
	v_lshlrev_b32_e32 v0, 4, v0
	v_add_co_u32_e32 v26, vcc, s12, v0
	v_addc_co_u32_e32 v27, vcc, 0, v71, vcc
	v_add_co_u32_e32 v22, vcc, s9, v26
	v_addc_co_u32_e32 v23, vcc, 0, v27, vcc
	s_waitcnt lgkmcnt(0)
	s_barrier
	global_load_dwordx4 v[0:3], v[22:23], off offset:528
	v_add_co_u32_e32 v24, vcc, s8, v26
	v_addc_co_u32_e32 v25, vcc, 0, v27, vcc
	global_load_dwordx4 v[4:7], v[24:25], off offset:16
	global_load_dwordx4 v[10:13], v[24:25], off offset:32
	;; [unrolled: 1-line block ×4, first 2 shown]
	s_movk_i32 s9, 0x4000
	v_add_co_u32_e32 v42, vcc, s9, v26
	v_addc_co_u32_e32 v43, vcc, 0, v27, vcc
	global_load_dwordx4 v[22:25], v[42:43], off offset:480
	s_movk_i32 s8, 0x41e0
	v_add_co_u32_e32 v44, vcc, s8, v26
	v_addc_co_u32_e32 v45, vcc, 0, v27, vcc
	global_load_dwordx4 v[26:29], v[44:45], off offset:16
	global_load_dwordx4 v[30:33], v[44:45], off offset:32
	;; [unrolled: 1-line block ×4, first 2 shown]
	ds_read_b128 v[42:45], v114
	ds_read_b128 v[46:49], v114 offset:2448
	ds_read_b128 v[50:53], v114 offset:4896
	;; [unrolled: 1-line block ×11, first 2 shown]
	s_waitcnt vmcnt(0) lgkmcnt(0)
	s_barrier
	v_cmp_ne_u32_e32 vcc, 0, v70
	v_mul_f64 v[66:67], v[52:53], v[2:3]
	v_mul_f64 v[2:3], v[50:51], v[2:3]
	;; [unrolled: 1-line block ×5, first 2 shown]
	v_fma_f64 v[50:51], v[50:51], v[0:1], -v[66:67]
	v_fma_f64 v[0:1], v[52:53], v[0:1], v[2:3]
	v_mul_f64 v[2:3], v[74:75], v[12:13]
	v_mul_f64 v[12:13], v[84:85], v[16:17]
	v_fma_f64 v[52:53], v[58:59], v[4:5], -v[98:99]
	v_mul_f64 v[16:17], v[82:83], v[16:17]
	v_fma_f64 v[4:5], v[60:61], v[4:5], v[6:7]
	v_fma_f64 v[6:7], v[74:75], v[10:11], -v[100:101]
	v_mul_f64 v[58:59], v[92:93], v[20:21]
	v_mul_f64 v[20:21], v[90:91], v[20:21]
	v_fma_f64 v[2:3], v[76:77], v[10:11], v[2:3]
	v_fma_f64 v[10:11], v[82:83], v[14:15], -v[12:13]
	v_mul_f64 v[12:13], v[56:57], v[24:25]
	v_fma_f64 v[14:15], v[84:85], v[14:15], v[16:17]
	v_mul_f64 v[16:17], v[54:55], v[24:25]
	v_mul_f64 v[24:25], v[64:65], v[28:29]
	v_fma_f64 v[58:59], v[90:91], v[18:19], -v[58:59]
	v_fma_f64 v[18:19], v[92:93], v[18:19], v[20:21]
	v_mul_f64 v[20:21], v[62:63], v[28:29]
	v_mul_f64 v[28:29], v[80:81], v[32:33]
	v_fma_f64 v[54:55], v[54:55], v[22:23], -v[12:13]
	v_mul_f64 v[12:13], v[78:79], v[32:33]
	v_fma_f64 v[32:33], v[56:57], v[22:23], v[16:17]
	v_fma_f64 v[24:25], v[62:63], v[26:27], -v[24:25]
	v_mul_f64 v[16:17], v[88:89], v[36:37]
	v_mul_f64 v[22:23], v[86:87], v[36:37]
	v_fma_f64 v[20:21], v[64:65], v[26:27], v[20:21]
	v_fma_f64 v[26:27], v[78:79], v[30:31], -v[28:29]
	v_add_f64 v[28:29], v[52:53], v[10:11]
	v_fma_f64 v[30:31], v[80:81], v[30:31], v[12:13]
	v_add_f64 v[12:13], v[6:7], v[58:59]
	v_add_f64 v[36:37], v[2:3], v[18:19]
	v_fma_f64 v[56:57], v[86:87], v[34:35], -v[16:17]
	v_fma_f64 v[34:35], v[88:89], v[34:35], v[22:23]
	v_mul_f64 v[16:17], v[96:97], v[40:41]
	v_add_f64 v[22:23], v[42:43], v[52:53]
	v_fma_f64 v[28:29], v[28:29], -0.5, v[42:43]
	v_add_f64 v[42:43], v[4:5], -v[14:15]
	v_fma_f64 v[12:13], v[12:13], -0.5, v[50:51]
	v_fma_f64 v[36:37], v[36:37], -0.5, v[0:1]
	v_add_f64 v[60:61], v[6:7], -v[58:59]
	v_add_f64 v[62:63], v[2:3], -v[18:19]
	v_fma_f64 v[64:65], v[94:95], v[38:39], -v[16:17]
	v_mul_f64 v[16:17], v[94:95], v[40:41]
	v_add_f64 v[40:41], v[4:5], v[14:15]
	v_fma_f64 v[66:67], v[42:43], s[4:5], v[28:29]
	v_fma_f64 v[28:29], v[42:43], s[6:7], v[28:29]
	v_add_f64 v[4:5], v[44:45], v[4:5]
	v_fma_f64 v[42:43], v[60:61], s[6:7], v[36:37]
	v_fma_f64 v[74:75], v[62:63], s[6:7], v[12:13]
	;; [unrolled: 1-line block ×3, first 2 shown]
	v_add_f64 v[22:23], v[22:23], v[10:11]
	v_fma_f64 v[12:13], v[62:63], s[4:5], v[12:13]
	v_fma_f64 v[40:41], v[40:41], -0.5, v[44:45]
	v_add_f64 v[10:11], v[52:53], -v[10:11]
	v_add_f64 v[6:7], v[50:51], v[6:7]
	v_mul_f64 v[44:45], v[42:43], s[4:5]
	v_mul_f64 v[50:51], v[74:75], -0.5
	v_add_f64 v[52:53], v[4:5], v[14:15]
	v_mul_f64 v[4:5], v[36:37], -0.5
	v_fma_f64 v[38:39], v[96:97], v[38:39], v[16:17]
	v_add_f64 v[0:1], v[0:1], v[2:3]
	v_add_f64 v[16:17], v[24:25], v[56:57]
	;; [unrolled: 1-line block ×3, first 2 shown]
	v_fma_f64 v[44:45], v[12:13], 0.5, v[44:45]
	v_fma_f64 v[36:37], v[36:37], s[4:5], v[50:51]
	v_add_f64 v[62:63], v[26:27], v[64:65]
	v_fma_f64 v[58:59], v[74:75], s[6:7], v[4:5]
	v_add_f64 v[74:75], v[30:31], v[38:39]
	v_mul_f64 v[2:3], v[12:13], s[6:7]
	v_fma_f64 v[60:61], v[10:11], s[6:7], v[40:41]
	v_add_f64 v[50:51], v[0:1], v[18:19]
	v_fma_f64 v[40:41], v[10:11], s[4:5], v[40:41]
	v_add_f64 v[0:1], v[22:23], v[14:15]
	v_add_f64 v[4:5], v[66:67], v[44:45]
	;; [unrolled: 1-line block ×3, first 2 shown]
	v_add_f64 v[14:15], v[22:23], -v[14:15]
	v_add_f64 v[18:19], v[66:67], -v[44:45]
	;; [unrolled: 1-line block ×3, first 2 shown]
	v_add_f64 v[28:29], v[46:47], v[24:25]
	v_fma_f64 v[36:37], v[16:17], -0.5, v[46:47]
	v_add_f64 v[44:45], v[20:21], -v[34:35]
	v_fma_f64 v[46:47], v[62:63], -0.5, v[54:55]
	v_fma_f64 v[62:63], v[74:75], -0.5, v[32:33]
	v_add_f64 v[66:67], v[26:27], -v[64:65]
	v_add_f64 v[74:75], v[30:31], -v[38:39]
	v_add_f64 v[76:77], v[20:21], v[34:35]
	v_add_f64 v[20:21], v[48:49], v[20:21]
	v_fma_f64 v[42:43], v[42:43], 0.5, v[2:3]
	v_add_f64 v[2:3], v[52:53], v[50:51]
	v_add_f64 v[16:17], v[52:53], -v[50:51]
	v_add_f64 v[50:51], v[28:29], v[56:57]
	v_fma_f64 v[52:53], v[44:45], s[4:5], v[36:37]
	v_fma_f64 v[44:45], v[44:45], s[6:7], v[36:37]
	;; [unrolled: 1-line block ×6, first 2 shown]
	v_add_f64 v[24:25], v[24:25], -v[56:57]
	v_add_f64 v[56:57], v[20:21], v[34:35]
	v_add_f64 v[20:21], v[54:55], v[26:27]
	;; [unrolled: 1-line block ×3, first 2 shown]
	v_fma_f64 v[48:49], v[76:77], -0.5, v[48:49]
	v_mul_f64 v[26:27], v[28:29], s[4:5]
	v_mul_f64 v[32:33], v[46:47], s[6:7]
	v_mul_f64 v[34:35], v[36:37], -0.5
	v_mul_f64 v[54:55], v[62:63], -0.5
	v_add_f64 v[6:7], v[60:61], v[42:43]
	v_add_f64 v[64:65], v[20:21], v[64:65]
	v_add_f64 v[74:75], v[30:31], v[38:39]
	v_fma_f64 v[66:67], v[24:25], s[6:7], v[48:49]
	v_fma_f64 v[46:47], v[46:47], 0.5, v[26:27]
	v_fma_f64 v[76:77], v[28:29], 0.5, v[32:33]
	v_fma_f64 v[48:49], v[24:25], s[4:5], v[48:49]
	v_fma_f64 v[62:63], v[62:63], s[4:5], v[34:35]
	;; [unrolled: 1-line block ×3, first 2 shown]
	v_add_f64 v[12:13], v[40:41], v[58:59]
	v_add_f64 v[20:21], v[60:61], -v[42:43]
	v_add_f64 v[24:25], v[40:41], -v[58:59]
	v_add_f64 v[26:27], v[50:51], v[64:65]
	v_add_f64 v[28:29], v[56:57], v[74:75]
	;; [unrolled: 1-line block ×6, first 2 shown]
	v_add_f64 v[38:39], v[50:51], -v[64:65]
	v_add_f64 v[42:43], v[52:53], -v[46:47]
	;; [unrolled: 1-line block ×6, first 2 shown]
	ds_write_b128 v114, v[0:3]
	ds_write_b128 v114, v[4:7] offset:4896
	ds_write_b128 v114, v[10:13] offset:9792
	;; [unrolled: 1-line block ×11, first 2 shown]
	s_waitcnt lgkmcnt(0)
	s_barrier
	ds_read_b128 v[4:7], v114
	s_add_u32 s6, s12, 0x71b0
	v_lshlrev_b32_e32 v0, 4, v70
	s_addc_u32 s7, s13, 0
	v_sub_u32_e32 v14, 0, v0
                                        ; implicit-def: $vgpr0_vgpr1
                                        ; implicit-def: $vgpr10_vgpr11
                                        ; implicit-def: $vgpr12_vgpr13
	s_and_saveexec_b64 s[4:5], vcc
	s_xor_b64 s[4:5], exec, s[4:5]
	s_cbranch_execz .LBB0_17
; %bb.16:
	v_mov_b32_e32 v1, s7
	v_add_co_u32_e32 v0, vcc, s6, v8
	v_addc_co_u32_e32 v1, vcc, v1, v9, vcc
	global_load_dwordx4 v[15:18], v[0:1], off
	ds_read_b128 v[0:3], v14 offset:29376
	s_waitcnt lgkmcnt(0)
	v_add_f64 v[10:11], v[4:5], -v[0:1]
	v_add_f64 v[12:13], v[6:7], v[2:3]
	v_add_f64 v[2:3], v[6:7], -v[2:3]
	v_add_f64 v[0:1], v[4:5], v[0:1]
	v_mul_f64 v[6:7], v[10:11], 0.5
	v_mul_f64 v[4:5], v[12:13], 0.5
	;; [unrolled: 1-line block ×3, first 2 shown]
	s_waitcnt vmcnt(0)
	v_mul_f64 v[10:11], v[6:7], v[17:18]
	v_fma_f64 v[12:13], v[4:5], v[17:18], v[2:3]
	v_fma_f64 v[2:3], v[4:5], v[17:18], -v[2:3]
	v_fma_f64 v[19:20], v[0:1], 0.5, v[10:11]
	v_fma_f64 v[0:1], v[0:1], 0.5, -v[10:11]
	v_fma_f64 v[12:13], -v[15:16], v[6:7], v[12:13]
	v_fma_f64 v[2:3], -v[15:16], v[6:7], v[2:3]
	v_fma_f64 v[10:11], v[4:5], v[15:16], v[19:20]
	v_fma_f64 v[0:1], -v[4:5], v[15:16], v[0:1]
                                        ; implicit-def: $vgpr4_vgpr5
.LBB0_17:
	s_andn2_saveexec_b64 s[4:5], s[4:5]
	s_cbranch_execz .LBB0_19
; %bb.18:
	s_waitcnt lgkmcnt(0)
	v_add_f64 v[10:11], v[4:5], v[6:7]
	v_add_f64 v[0:1], v[4:5], -v[6:7]
	v_mov_b32_e32 v4, 0
	ds_read_b64 v[2:3], v4 offset:14696
	v_mov_b32_e32 v12, 0
	v_mov_b32_e32 v13, 0
	s_waitcnt lgkmcnt(0)
	v_xor_b32_e32 v3, 0x80000000, v3
	ds_write_b64 v4, v[2:3] offset:14696
	v_mov_b32_e32 v2, v12
	v_mov_b32_e32 v3, v13
.LBB0_19:
	s_or_b64 exec, exec, s[4:5]
	s_waitcnt lgkmcnt(0)
	v_mov_b32_e32 v4, s7
	v_add_co_u32_e32 v19, vcc, s6, v8
	v_addc_co_u32_e32 v20, vcc, v4, v9, vcc
	global_load_dwordx4 v[4:7], v[19:20], off offset:2448
	s_movk_i32 s4, 0x1000
	v_add_co_u32_e32 v21, vcc, s4, v19
	v_addc_co_u32_e32 v22, vcc, 0, v20, vcc
	global_load_dwordx4 v[15:18], v[21:22], off offset:800
	ds_write2_b64 v114, v[10:11], v[12:13] offset1:1
	ds_write_b128 v14, v[0:3] offset:29376
	ds_read_b128 v[0:3], v114 offset:2448
	ds_read_b128 v[8:11], v14 offset:26928
	s_movk_i32 s4, 0x2000
	v_add_co_u32_e32 v19, vcc, s4, v19
	v_addc_co_u32_e32 v20, vcc, 0, v20, vcc
	s_waitcnt lgkmcnt(0)
	v_add_f64 v[12:13], v[0:1], -v[8:9]
	v_add_f64 v[23:24], v[2:3], v[10:11]
	v_add_f64 v[2:3], v[2:3], -v[10:11]
	v_add_f64 v[0:1], v[0:1], v[8:9]
	v_mul_f64 v[10:11], v[12:13], 0.5
	v_mul_f64 v[12:13], v[23:24], 0.5
	v_mul_f64 v[2:3], v[2:3], 0.5
	s_waitcnt vmcnt(1)
	v_mul_f64 v[8:9], v[10:11], v[6:7]
	v_fma_f64 v[23:24], v[12:13], v[6:7], v[2:3]
	v_fma_f64 v[6:7], v[12:13], v[6:7], -v[2:3]
	v_fma_f64 v[25:26], v[0:1], 0.5, v[8:9]
	v_fma_f64 v[8:9], v[0:1], 0.5, -v[8:9]
	global_load_dwordx4 v[0:3], v[21:22], off offset:3248
	v_fma_f64 v[21:22], -v[4:5], v[10:11], v[23:24]
	v_fma_f64 v[6:7], -v[4:5], v[10:11], v[6:7]
	v_fma_f64 v[10:11], v[12:13], v[4:5], v[25:26]
	v_fma_f64 v[4:5], -v[12:13], v[4:5], v[8:9]
	v_add_u32_e32 v8, 0x800, v114
	ds_write2_b64 v8, v[10:11], v[21:22] offset0:50 offset1:51
	ds_write_b128 v14, v[4:7] offset:26928
	ds_read_b128 v[4:7], v114 offset:4896
	ds_read_b128 v[8:11], v14 offset:24480
	s_waitcnt lgkmcnt(0)
	v_add_f64 v[12:13], v[4:5], -v[8:9]
	v_add_f64 v[21:22], v[6:7], v[10:11]
	v_add_f64 v[6:7], v[6:7], -v[10:11]
	v_add_f64 v[4:5], v[4:5], v[8:9]
	v_mul_f64 v[10:11], v[12:13], 0.5
	v_mul_f64 v[12:13], v[21:22], 0.5
	v_mul_f64 v[6:7], v[6:7], 0.5
	s_waitcnt vmcnt(1)
	v_mul_f64 v[8:9], v[10:11], v[17:18]
	v_fma_f64 v[21:22], v[12:13], v[17:18], v[6:7]
	v_fma_f64 v[17:18], v[12:13], v[17:18], -v[6:7]
	v_fma_f64 v[23:24], v[4:5], 0.5, v[8:9]
	v_fma_f64 v[8:9], v[4:5], 0.5, -v[8:9]
	global_load_dwordx4 v[4:7], v[19:20], off offset:1600
	v_fma_f64 v[21:22], -v[15:16], v[10:11], v[21:22]
	v_fma_f64 v[10:11], -v[15:16], v[10:11], v[17:18]
	v_fma_f64 v[17:18], v[12:13], v[15:16], v[23:24]
	v_fma_f64 v[8:9], -v[12:13], v[15:16], v[8:9]
	v_add_u32_e32 v12, 0x1000, v114
	ds_write2_b64 v12, v[17:18], v[21:22] offset0:100 offset1:101
	ds_write_b128 v14, v[8:11] offset:24480
	ds_read_b128 v[8:11], v114 offset:7344
	ds_read_b128 v[15:18], v14 offset:22032
	;; [unrolled: 24-line block ×3, first 2 shown]
	s_waitcnt lgkmcnt(0)
	v_add_f64 v[12:13], v[0:1], -v[15:16]
	v_add_f64 v[19:20], v[2:3], v[17:18]
	v_add_f64 v[2:3], v[2:3], -v[17:18]
	v_add_f64 v[0:1], v[0:1], v[15:16]
	v_mul_f64 v[12:13], v[12:13], 0.5
	v_mul_f64 v[17:18], v[19:20], 0.5
	;; [unrolled: 1-line block ×3, first 2 shown]
	s_waitcnt vmcnt(1)
	v_mul_f64 v[15:16], v[12:13], v[6:7]
	v_fma_f64 v[19:20], v[17:18], v[6:7], v[2:3]
	v_fma_f64 v[2:3], v[17:18], v[6:7], -v[2:3]
	v_fma_f64 v[6:7], v[0:1], 0.5, v[15:16]
	v_fma_f64 v[0:1], v[0:1], 0.5, -v[15:16]
	v_fma_f64 v[15:16], -v[4:5], v[12:13], v[19:20]
	v_fma_f64 v[2:3], -v[4:5], v[12:13], v[2:3]
	v_fma_f64 v[6:7], v[17:18], v[4:5], v[6:7]
	v_fma_f64 v[0:1], -v[17:18], v[4:5], v[0:1]
	v_add_u32_e32 v4, 0x2000, v114
	ds_write2_b64 v4, v[6:7], v[15:16] offset0:200 offset1:201
	ds_write_b128 v14, v[0:3] offset:19584
	ds_read_b128 v[0:3], v114 offset:12240
	ds_read_b128 v[4:7], v14 offset:17136
	s_waitcnt lgkmcnt(0)
	v_add_f64 v[12:13], v[0:1], -v[4:5]
	v_add_f64 v[15:16], v[2:3], v[6:7]
	v_add_f64 v[2:3], v[2:3], -v[6:7]
	v_add_f64 v[0:1], v[0:1], v[4:5]
	v_mul_f64 v[6:7], v[12:13], 0.5
	v_mul_f64 v[12:13], v[15:16], 0.5
	;; [unrolled: 1-line block ×3, first 2 shown]
	s_waitcnt vmcnt(0)
	v_mul_f64 v[4:5], v[6:7], v[10:11]
	v_fma_f64 v[15:16], v[12:13], v[10:11], v[2:3]
	v_fma_f64 v[2:3], v[12:13], v[10:11], -v[2:3]
	v_fma_f64 v[10:11], v[0:1], 0.5, v[4:5]
	v_fma_f64 v[0:1], v[0:1], 0.5, -v[4:5]
	v_fma_f64 v[4:5], -v[8:9], v[6:7], v[15:16]
	v_fma_f64 v[2:3], -v[8:9], v[6:7], v[2:3]
	v_fma_f64 v[6:7], v[12:13], v[8:9], v[10:11]
	v_fma_f64 v[0:1], -v[12:13], v[8:9], v[0:1]
	v_add_u32_e32 v8, 0x2800, v114
	ds_write2_b64 v8, v[6:7], v[4:5] offset0:250 offset1:251
	ds_write_b128 v14, v[0:3] offset:17136
	s_waitcnt lgkmcnt(0)
	s_barrier
	s_and_saveexec_b64 s[4:5], s[0:1]
	s_cbranch_execz .LBB0_22
; %bb.20:
	v_mul_lo_u32 v2, s3, v72
	v_mul_lo_u32 v3, s2, v73
	v_mad_u64_u32 v[0:1], s[0:1], s2, v72, 0
	v_mov_b32_e32 v6, s11
	v_lshl_add_u32 v12, v70, 4, 0
	v_add3_u32 v1, v1, v3, v2
	v_lshlrev_b64 v[0:1], 4, v[0:1]
	v_mov_b32_e32 v71, 0
	v_add_co_u32_e32 v0, vcc, s10, v0
	v_addc_co_u32_e32 v8, vcc, v6, v1, vcc
	v_lshlrev_b64 v[6:7], 4, v[68:69]
	ds_read_b128 v[2:5], v12
	v_add_co_u32_e32 v1, vcc, v0, v6
	v_addc_co_u32_e32 v0, vcc, v8, v7, vcc
	v_lshlrev_b64 v[6:7], 4, v[70:71]
	s_movk_i32 s0, 0x98
	v_add_co_u32_e32 v10, vcc, v1, v6
	v_addc_co_u32_e32 v11, vcc, v0, v7, vcc
	ds_read_b128 v[6:9], v12 offset:2448
	s_waitcnt lgkmcnt(1)
	global_store_dwordx4 v[10:11], v[2:5], off
	s_nop 0
	v_add_u32_e32 v2, 0x99, v70
	v_mov_b32_e32 v3, v71
	v_lshlrev_b64 v[2:3], 4, v[2:3]
	v_add_co_u32_e32 v2, vcc, v1, v2
	v_addc_co_u32_e32 v3, vcc, v0, v3, vcc
	s_waitcnt lgkmcnt(0)
	global_store_dwordx4 v[2:3], v[6:9], off
	ds_read_b128 v[2:5], v12 offset:4896
	v_add_u32_e32 v6, 0x132, v70
	v_mov_b32_e32 v7, v71
	v_lshlrev_b64 v[6:7], 4, v[6:7]
	v_add_co_u32_e32 v10, vcc, v1, v6
	v_addc_co_u32_e32 v11, vcc, v0, v7, vcc
	ds_read_b128 v[6:9], v12 offset:7344
	s_waitcnt lgkmcnt(1)
	global_store_dwordx4 v[10:11], v[2:5], off
	s_nop 0
	v_add_u32_e32 v2, 0x1cb, v70
	v_mov_b32_e32 v3, v71
	v_lshlrev_b64 v[2:3], 4, v[2:3]
	v_add_co_u32_e32 v2, vcc, v1, v2
	v_addc_co_u32_e32 v3, vcc, v0, v3, vcc
	s_waitcnt lgkmcnt(0)
	global_store_dwordx4 v[2:3], v[6:9], off
	ds_read_b128 v[2:5], v12 offset:9792
	v_add_u32_e32 v6, 0x264, v70
	v_mov_b32_e32 v7, v71
	v_lshlrev_b64 v[6:7], 4, v[6:7]
	;; [unrolled: 17-line block ×5, first 2 shown]
	v_add_co_u32_e32 v10, vcc, v1, v6
	v_addc_co_u32_e32 v11, vcc, v0, v7, vcc
	ds_read_b128 v[6:9], v12 offset:26928
	s_waitcnt lgkmcnt(1)
	global_store_dwordx4 v[10:11], v[2:5], off
	s_nop 0
	v_add_u32_e32 v2, 0x693, v70
	v_mov_b32_e32 v3, v71
	v_lshlrev_b64 v[2:3], 4, v[2:3]
	v_add_co_u32_e32 v2, vcc, v1, v2
	v_addc_co_u32_e32 v3, vcc, v0, v3, vcc
	v_cmp_eq_u32_e32 vcc, s0, v70
	s_waitcnt lgkmcnt(0)
	global_store_dwordx4 v[2:3], v[6:9], off
	s_and_b64 exec, exec, vcc
	s_cbranch_execz .LBB0_22
; %bb.21:
	ds_read_b128 v[2:5], v71 offset:29376
	v_add_co_u32_e32 v6, vcc, 0x7000, v1
	v_addc_co_u32_e32 v7, vcc, 0, v0, vcc
	s_waitcnt lgkmcnt(0)
	global_store_dwordx4 v[6:7], v[2:5], off offset:704
.LBB0_22:
	s_endpgm
	.section	.rodata,"a",@progbits
	.p2align	6, 0x0
	.amdhsa_kernel fft_rtc_fwd_len1836_factors_17_3_3_2_6_wgs_153_tpt_153_halfLds_dp_op_CI_CI_unitstride_sbrr_R2C_dirReg
		.amdhsa_group_segment_fixed_size 0
		.amdhsa_private_segment_fixed_size 0
		.amdhsa_kernarg_size 104
		.amdhsa_user_sgpr_count 6
		.amdhsa_user_sgpr_private_segment_buffer 1
		.amdhsa_user_sgpr_dispatch_ptr 0
		.amdhsa_user_sgpr_queue_ptr 0
		.amdhsa_user_sgpr_kernarg_segment_ptr 1
		.amdhsa_user_sgpr_dispatch_id 0
		.amdhsa_user_sgpr_flat_scratch_init 0
		.amdhsa_user_sgpr_private_segment_size 0
		.amdhsa_uses_dynamic_stack 0
		.amdhsa_system_sgpr_private_segment_wavefront_offset 0
		.amdhsa_system_sgpr_workgroup_id_x 1
		.amdhsa_system_sgpr_workgroup_id_y 0
		.amdhsa_system_sgpr_workgroup_id_z 0
		.amdhsa_system_sgpr_workgroup_info 0
		.amdhsa_system_vgpr_workitem_id 0
		.amdhsa_next_free_vgpr 163
		.amdhsa_next_free_sgpr 60
		.amdhsa_reserve_vcc 1
		.amdhsa_reserve_flat_scratch 0
		.amdhsa_float_round_mode_32 0
		.amdhsa_float_round_mode_16_64 0
		.amdhsa_float_denorm_mode_32 3
		.amdhsa_float_denorm_mode_16_64 3
		.amdhsa_dx10_clamp 1
		.amdhsa_ieee_mode 1
		.amdhsa_fp16_overflow 0
		.amdhsa_exception_fp_ieee_invalid_op 0
		.amdhsa_exception_fp_denorm_src 0
		.amdhsa_exception_fp_ieee_div_zero 0
		.amdhsa_exception_fp_ieee_overflow 0
		.amdhsa_exception_fp_ieee_underflow 0
		.amdhsa_exception_fp_ieee_inexact 0
		.amdhsa_exception_int_div_zero 0
	.end_amdhsa_kernel
	.text
.Lfunc_end0:
	.size	fft_rtc_fwd_len1836_factors_17_3_3_2_6_wgs_153_tpt_153_halfLds_dp_op_CI_CI_unitstride_sbrr_R2C_dirReg, .Lfunc_end0-fft_rtc_fwd_len1836_factors_17_3_3_2_6_wgs_153_tpt_153_halfLds_dp_op_CI_CI_unitstride_sbrr_R2C_dirReg
                                        ; -- End function
	.section	.AMDGPU.csdata,"",@progbits
; Kernel info:
; codeLenInByte = 14596
; NumSgprs: 64
; NumVgprs: 163
; ScratchSize: 0
; MemoryBound: 0
; FloatMode: 240
; IeeeMode: 1
; LDSByteSize: 0 bytes/workgroup (compile time only)
; SGPRBlocks: 7
; VGPRBlocks: 40
; NumSGPRsForWavesPerEU: 64
; NumVGPRsForWavesPerEU: 163
; Occupancy: 1
; WaveLimiterHint : 1
; COMPUTE_PGM_RSRC2:SCRATCH_EN: 0
; COMPUTE_PGM_RSRC2:USER_SGPR: 6
; COMPUTE_PGM_RSRC2:TRAP_HANDLER: 0
; COMPUTE_PGM_RSRC2:TGID_X_EN: 1
; COMPUTE_PGM_RSRC2:TGID_Y_EN: 0
; COMPUTE_PGM_RSRC2:TGID_Z_EN: 0
; COMPUTE_PGM_RSRC2:TIDIG_COMP_CNT: 0
	.type	__hip_cuid_128d1a2221bde532,@object ; @__hip_cuid_128d1a2221bde532
	.section	.bss,"aw",@nobits
	.globl	__hip_cuid_128d1a2221bde532
__hip_cuid_128d1a2221bde532:
	.byte	0                               ; 0x0
	.size	__hip_cuid_128d1a2221bde532, 1

	.ident	"AMD clang version 19.0.0git (https://github.com/RadeonOpenCompute/llvm-project roc-6.4.0 25133 c7fe45cf4b819c5991fe208aaa96edf142730f1d)"
	.section	".note.GNU-stack","",@progbits
	.addrsig
	.addrsig_sym __hip_cuid_128d1a2221bde532
	.amdgpu_metadata
---
amdhsa.kernels:
  - .args:
      - .actual_access:  read_only
        .address_space:  global
        .offset:         0
        .size:           8
        .value_kind:     global_buffer
      - .offset:         8
        .size:           8
        .value_kind:     by_value
      - .actual_access:  read_only
        .address_space:  global
        .offset:         16
        .size:           8
        .value_kind:     global_buffer
      - .actual_access:  read_only
        .address_space:  global
        .offset:         24
        .size:           8
        .value_kind:     global_buffer
      - .actual_access:  read_only
        .address_space:  global
        .offset:         32
        .size:           8
        .value_kind:     global_buffer
      - .offset:         40
        .size:           8
        .value_kind:     by_value
      - .actual_access:  read_only
        .address_space:  global
        .offset:         48
        .size:           8
        .value_kind:     global_buffer
      - .actual_access:  read_only
        .address_space:  global
        .offset:         56
        .size:           8
        .value_kind:     global_buffer
      - .offset:         64
        .size:           4
        .value_kind:     by_value
      - .actual_access:  read_only
        .address_space:  global
        .offset:         72
        .size:           8
        .value_kind:     global_buffer
      - .actual_access:  read_only
        .address_space:  global
        .offset:         80
        .size:           8
        .value_kind:     global_buffer
      - .actual_access:  read_only
        .address_space:  global
        .offset:         88
        .size:           8
        .value_kind:     global_buffer
      - .actual_access:  write_only
        .address_space:  global
        .offset:         96
        .size:           8
        .value_kind:     global_buffer
    .group_segment_fixed_size: 0
    .kernarg_segment_align: 8
    .kernarg_segment_size: 104
    .language:       OpenCL C
    .language_version:
      - 2
      - 0
    .max_flat_workgroup_size: 153
    .name:           fft_rtc_fwd_len1836_factors_17_3_3_2_6_wgs_153_tpt_153_halfLds_dp_op_CI_CI_unitstride_sbrr_R2C_dirReg
    .private_segment_fixed_size: 0
    .sgpr_count:     64
    .sgpr_spill_count: 0
    .symbol:         fft_rtc_fwd_len1836_factors_17_3_3_2_6_wgs_153_tpt_153_halfLds_dp_op_CI_CI_unitstride_sbrr_R2C_dirReg.kd
    .uniform_work_group_size: 1
    .uses_dynamic_stack: false
    .vgpr_count:     163
    .vgpr_spill_count: 0
    .wavefront_size: 64
amdhsa.target:   amdgcn-amd-amdhsa--gfx906
amdhsa.version:
  - 1
  - 2
...

	.end_amdgpu_metadata
